;; amdgpu-corpus repo=ROCm/rocThrust kind=compiled arch=gfx1250 opt=O3
	.amdgcn_target "amdgcn-amd-amdhsa--gfx1250"
	.amdhsa_code_object_version 6
	.section	.text._ZN7rocprim17ROCPRIM_400000_NS6detail17trampoline_kernelINS0_14default_configENS1_22reduce_config_selectorIfEEZNS1_11reduce_implILb1ES3_PfS7_fN6thrust23THRUST_200600_302600_NS4plusIfEEEE10hipError_tPvRmT1_T2_T3_mT4_P12ihipStream_tbEUlT_E0_NS1_11comp_targetILNS1_3genE0ELNS1_11target_archE4294967295ELNS1_3gpuE0ELNS1_3repE0EEENS1_30default_config_static_selectorELNS0_4arch9wavefront6targetE0EEEvSF_,"axG",@progbits,_ZN7rocprim17ROCPRIM_400000_NS6detail17trampoline_kernelINS0_14default_configENS1_22reduce_config_selectorIfEEZNS1_11reduce_implILb1ES3_PfS7_fN6thrust23THRUST_200600_302600_NS4plusIfEEEE10hipError_tPvRmT1_T2_T3_mT4_P12ihipStream_tbEUlT_E0_NS1_11comp_targetILNS1_3genE0ELNS1_11target_archE4294967295ELNS1_3gpuE0ELNS1_3repE0EEENS1_30default_config_static_selectorELNS0_4arch9wavefront6targetE0EEEvSF_,comdat
	.protected	_ZN7rocprim17ROCPRIM_400000_NS6detail17trampoline_kernelINS0_14default_configENS1_22reduce_config_selectorIfEEZNS1_11reduce_implILb1ES3_PfS7_fN6thrust23THRUST_200600_302600_NS4plusIfEEEE10hipError_tPvRmT1_T2_T3_mT4_P12ihipStream_tbEUlT_E0_NS1_11comp_targetILNS1_3genE0ELNS1_11target_archE4294967295ELNS1_3gpuE0ELNS1_3repE0EEENS1_30default_config_static_selectorELNS0_4arch9wavefront6targetE0EEEvSF_ ; -- Begin function _ZN7rocprim17ROCPRIM_400000_NS6detail17trampoline_kernelINS0_14default_configENS1_22reduce_config_selectorIfEEZNS1_11reduce_implILb1ES3_PfS7_fN6thrust23THRUST_200600_302600_NS4plusIfEEEE10hipError_tPvRmT1_T2_T3_mT4_P12ihipStream_tbEUlT_E0_NS1_11comp_targetILNS1_3genE0ELNS1_11target_archE4294967295ELNS1_3gpuE0ELNS1_3repE0EEENS1_30default_config_static_selectorELNS0_4arch9wavefront6targetE0EEEvSF_
	.globl	_ZN7rocprim17ROCPRIM_400000_NS6detail17trampoline_kernelINS0_14default_configENS1_22reduce_config_selectorIfEEZNS1_11reduce_implILb1ES3_PfS7_fN6thrust23THRUST_200600_302600_NS4plusIfEEEE10hipError_tPvRmT1_T2_T3_mT4_P12ihipStream_tbEUlT_E0_NS1_11comp_targetILNS1_3genE0ELNS1_11target_archE4294967295ELNS1_3gpuE0ELNS1_3repE0EEENS1_30default_config_static_selectorELNS0_4arch9wavefront6targetE0EEEvSF_
	.p2align	8
	.type	_ZN7rocprim17ROCPRIM_400000_NS6detail17trampoline_kernelINS0_14default_configENS1_22reduce_config_selectorIfEEZNS1_11reduce_implILb1ES3_PfS7_fN6thrust23THRUST_200600_302600_NS4plusIfEEEE10hipError_tPvRmT1_T2_T3_mT4_P12ihipStream_tbEUlT_E0_NS1_11comp_targetILNS1_3genE0ELNS1_11target_archE4294967295ELNS1_3gpuE0ELNS1_3repE0EEENS1_30default_config_static_selectorELNS0_4arch9wavefront6targetE0EEEvSF_,@function
_ZN7rocprim17ROCPRIM_400000_NS6detail17trampoline_kernelINS0_14default_configENS1_22reduce_config_selectorIfEEZNS1_11reduce_implILb1ES3_PfS7_fN6thrust23THRUST_200600_302600_NS4plusIfEEEE10hipError_tPvRmT1_T2_T3_mT4_P12ihipStream_tbEUlT_E0_NS1_11comp_targetILNS1_3genE0ELNS1_11target_archE4294967295ELNS1_3gpuE0ELNS1_3repE0EEENS1_30default_config_static_selectorELNS0_4arch9wavefront6targetE0EEEvSF_: ; @_ZN7rocprim17ROCPRIM_400000_NS6detail17trampoline_kernelINS0_14default_configENS1_22reduce_config_selectorIfEEZNS1_11reduce_implILb1ES3_PfS7_fN6thrust23THRUST_200600_302600_NS4plusIfEEEE10hipError_tPvRmT1_T2_T3_mT4_P12ihipStream_tbEUlT_E0_NS1_11comp_targetILNS1_3genE0ELNS1_11target_archE4294967295ELNS1_3gpuE0ELNS1_3repE0EEENS1_30default_config_static_selectorELNS0_4arch9wavefront6targetE0EEEvSF_
; %bb.0:
	s_clause 0x1
	s_load_b256 s[4:11], s[0:1], 0x0
	s_load_b128 s[12:15], s[0:1], 0x20
	s_bfe_u32 s2, ttmp6, 0x4000c
	s_and_b32 s16, ttmp6, 15
	s_add_co_i32 s2, s2, 1
	s_getreg_b32 s18, hwreg(HW_REG_IB_STS2, 6, 4)
	s_mul_i32 s2, ttmp9, s2
	s_mov_b32 s3, 0
	s_add_co_i32 s2, s16, s2
	v_mbcnt_lo_u32_b32 v1, -1, 0
	s_wait_kmcnt 0x0
	s_lshl_b64 s[16:17], s[6:7], 2
	s_cmp_eq_u32 s18, 0
	s_mov_b32 s7, s3
	s_cselect_b32 s6, ttmp9, s2
	s_add_nc_u64 s[4:5], s[4:5], s[16:17]
	s_lshl_b32 s2, s6, 10
	s_lshr_b64 s[16:17], s[8:9], 10
	s_lshl_b64 s[18:19], s[2:3], 2
	s_cmp_lg_u64 s[16:17], s[6:7]
	s_add_nc_u64 s[4:5], s[4:5], s[18:19]
	s_cbranch_scc0 .LBB0_6
; %bb.1:
	s_clause 0x3
	global_load_b32 v2, v0, s[4:5] scale_offset
	global_load_b32 v3, v0, s[4:5] offset:1024 scale_offset
	global_load_b32 v4, v0, s[4:5] offset:2048 scale_offset
	;; [unrolled: 1-line block ×3, first 2 shown]
	s_mov_b32 s3, exec_lo
	s_wait_loadcnt 0x2
	v_add_f32_e32 v2, v2, v3
	s_wait_loadcnt 0x1
	s_delay_alu instid0(VALU_DEP_1) | instskip(SKIP_1) | instid1(VALU_DEP_1)
	v_add_f32_e32 v2, v2, v4
	s_wait_loadcnt 0x0
	v_add_f32_e32 v2, v2, v5
	s_delay_alu instid0(VALU_DEP_1) | instskip(NEXT) | instid1(VALU_DEP_1)
	v_mov_b32_dpp v3, v2 quad_perm:[1,0,3,2] row_mask:0xf bank_mask:0xf
	v_add_f32_e32 v2, v2, v3
	s_delay_alu instid0(VALU_DEP_1) | instskip(NEXT) | instid1(VALU_DEP_1)
	v_mov_b32_dpp v3, v2 quad_perm:[2,3,0,1] row_mask:0xf bank_mask:0xf
	v_add_f32_e32 v2, v2, v3
	s_delay_alu instid0(VALU_DEP_1) | instskip(NEXT) | instid1(VALU_DEP_1)
	v_mov_b32_dpp v3, v2 row_ror:4 row_mask:0xf bank_mask:0xf
	v_add_f32_e32 v2, v2, v3
	s_delay_alu instid0(VALU_DEP_1) | instskip(NEXT) | instid1(VALU_DEP_1)
	v_mov_b32_dpp v3, v2 row_ror:8 row_mask:0xf bank_mask:0xf
	v_add_f32_e32 v2, v2, v3
	ds_swizzle_b32 v3, v2 offset:swizzle(BROADCAST,32,15)
	s_wait_dscnt 0x0
	v_dual_add_f32 v2, v2, v3 :: v_dual_mov_b32 v3, 0
	ds_bpermute_b32 v2, v3, v2 offset:124
	v_cmpx_eq_u32_e32 0, v1
	s_cbranch_execz .LBB0_3
; %bb.2:
	v_lshrrev_b32_e32 v3, 3, v0
	s_delay_alu instid0(VALU_DEP_1)
	v_and_b32_e32 v3, 28, v3
	s_wait_dscnt 0x0
	ds_store_b32 v3, v2
.LBB0_3:
	s_or_b32 exec_lo, exec_lo, s3
	s_delay_alu instid0(SALU_CYCLE_1)
	s_mov_b32 s3, exec_lo
	s_wait_dscnt 0x0
	s_barrier_signal -1
	s_barrier_wait -1
	v_cmpx_gt_u32_e32 32, v0
	s_cbranch_execz .LBB0_5
; %bb.4:
	v_and_b32_e32 v2, 7, v1
	s_delay_alu instid0(VALU_DEP_1) | instskip(SKIP_1) | instid1(VALU_DEP_1)
	v_cmp_ne_u32_e32 vcc_lo, 7, v2
	v_add_co_ci_u32_e64 v4, null, 0, v1, vcc_lo
	v_dual_lshlrev_b32 v4, 2, v4 :: v_dual_lshlrev_b32 v3, 2, v2
	v_cmp_gt_u32_e32 vcc_lo, 6, v2
	ds_load_b32 v3, v3
	v_cndmask_b32_e64 v2, 0, 2, vcc_lo
	s_delay_alu instid0(VALU_DEP_1)
	v_add_lshl_u32 v2, v2, v1, 2
	s_wait_dscnt 0x0
	ds_bpermute_b32 v4, v4, v3
	s_wait_dscnt 0x0
	v_dual_add_f32 v3, v3, v4 :: v_dual_lshlrev_b32 v4, 2, v1
	ds_bpermute_b32 v2, v2, v3
	s_wait_dscnt 0x0
	v_dual_add_f32 v2, v3, v2 :: v_dual_bitop2_b32 v3, 16, v4 bitop3:0x54
	ds_bpermute_b32 v3, v3, v2
	s_wait_dscnt 0x0
	v_add_f32_e32 v2, v2, v3
.LBB0_5:
	s_or_b32 exec_lo, exec_lo, s3
	s_branch .LBB0_20
.LBB0_6:
                                        ; implicit-def: $vgpr2
	s_cbranch_execz .LBB0_20
; %bb.7:
	v_mov_b32_e32 v2, 0
	s_sub_co_i32 s16, s8, s2
	s_mov_b32 s2, exec_lo
	s_delay_alu instid0(VALU_DEP_1)
	v_dual_mov_b32 v3, v2 :: v_dual_mov_b32 v4, v2
	v_mov_b32_e32 v5, v2
	v_cmpx_gt_u32_e64 s16, v0
	s_cbranch_execz .LBB0_9
; %bb.8:
	global_load_b32 v4, v0, s[4:5] scale_offset
	v_dual_mov_b32 v5, v2 :: v_dual_mov_b32 v6, v2
	v_mov_b32_e32 v7, v2
	s_wait_loadcnt 0x0
	s_delay_alu instid0(VALU_DEP_2) | instskip(NEXT) | instid1(VALU_DEP_2)
	v_mov_b64_e32 v[2:3], v[4:5]
	v_mov_b64_e32 v[4:5], v[6:7]
.LBB0_9:
	s_or_b32 exec_lo, exec_lo, s2
	v_or_b32_e32 v6, 0x100, v0
	s_delay_alu instid0(VALU_DEP_1)
	v_cmp_gt_u32_e32 vcc_lo, s16, v6
	s_and_saveexec_b32 s2, vcc_lo
	s_cbranch_execz .LBB0_11
; %bb.10:
	global_load_b32 v3, v0, s[4:5] offset:1024 scale_offset
.LBB0_11:
	s_wait_xcnt 0x0
	s_or_b32 exec_lo, exec_lo, s2
	v_or_b32_e32 v6, 0x200, v0
	s_delay_alu instid0(VALU_DEP_1)
	v_cmp_gt_u32_e64 s2, s16, v6
	s_and_saveexec_b32 s3, s2
	s_cbranch_execz .LBB0_13
; %bb.12:
	global_load_b32 v4, v0, s[4:5] offset:2048 scale_offset
.LBB0_13:
	s_wait_xcnt 0x0
	s_or_b32 exec_lo, exec_lo, s3
	v_or_b32_e32 v6, 0x300, v0
	s_delay_alu instid0(VALU_DEP_1)
	v_cmp_gt_u32_e64 s3, s16, v6
	s_and_saveexec_b32 s17, s3
	s_cbranch_execz .LBB0_15
; %bb.14:
	global_load_b32 v5, v0, s[4:5] offset:3072 scale_offset
.LBB0_15:
	s_wait_xcnt 0x0
	s_or_b32 exec_lo, exec_lo, s17
	s_wait_loadcnt 0x0
	v_dual_add_f32 v3, v2, v3 :: v_dual_add_nc_u32 v7, 2, v1
	s_delay_alu instid0(VALU_DEP_1) | instskip(SKIP_1) | instid1(VALU_DEP_2)
	v_cndmask_b32_e32 v2, v2, v3, vcc_lo
	v_cmp_ne_u32_e32 vcc_lo, 31, v1
	v_add_f32_e32 v3, v4, v2
	s_delay_alu instid0(VALU_DEP_1) | instskip(SKIP_3) | instid1(VALU_DEP_3)
	v_cndmask_b32_e64 v2, v2, v3, s2
	v_add_co_ci_u32_e64 v3, null, 0, v1, vcc_lo
	v_cmp_gt_u32_e32 vcc_lo, 30, v1
	v_cmp_gt_u32_e64 s2, 28, v1
	v_dual_add_f32 v4, v5, v2 :: v_dual_lshlrev_b32 v3, 2, v3
	v_add_nc_u32_e32 v5, 1, v1
	v_cndmask_b32_e64 v6, 0, 2, vcc_lo
	s_delay_alu instid0(VALU_DEP_3) | instskip(SKIP_2) | instid1(VALU_DEP_3)
	v_cndmask_b32_e64 v2, v2, v4, s3
	v_and_b32_e32 v4, 0xe0, v0
	s_min_u32 s3, s16, 0x100
	v_add_lshl_u32 v6, v6, v1, 2
	ds_bpermute_b32 v3, v3, v2
	v_sub_nc_u32_e64 v4, s3, v4 clamp
	s_delay_alu instid0(VALU_DEP_1) | instskip(SKIP_2) | instid1(VALU_DEP_1)
	v_cmp_lt_u32_e32 vcc_lo, v5, v4
	s_wait_dscnt 0x0
	v_add_f32_e32 v3, v2, v3
	v_cndmask_b32_e32 v3, v2, v3, vcc_lo
	ds_bpermute_b32 v5, v6, v3
	v_cndmask_b32_e64 v6, 0, 4, s2
	v_cmp_lt_u32_e64 s2, v7, v4
	v_add_nc_u32_e32 v7, 4, v1
	s_delay_alu instid0(VALU_DEP_3) | instskip(SKIP_2) | instid1(VALU_DEP_1)
	v_add_lshl_u32 v6, v6, v1, 2
	s_wait_dscnt 0x0
	v_add_f32_e32 v5, v3, v5
	v_cndmask_b32_e64 v3, v3, v5, s2
	v_cmp_gt_u32_e64 s2, 24, v1
	ds_bpermute_b32 v5, v6, v3
	v_cndmask_b32_e64 v6, 0, 8, s2
	v_cmp_lt_u32_e64 s2, v7, v4
	v_add_nc_u32_e32 v7, 8, v1
	s_delay_alu instid0(VALU_DEP_3) | instskip(SKIP_2) | instid1(VALU_DEP_1)
	v_add_lshl_u32 v6, v6, v1, 2
	s_wait_dscnt 0x0
	v_add_f32_e32 v5, v3, v5
	v_cndmask_b32_e64 v5, v3, v5, s2
	v_lshlrev_b32_e32 v3, 2, v1
	v_cmp_lt_u32_e64 s2, v7, v4
	v_add_nc_u32_e32 v7, 16, v1
	ds_bpermute_b32 v6, v6, v5
	s_wait_dscnt 0x0
	v_dual_add_f32 v6, v5, v6 :: v_dual_bitop2_b32 v8, 64, v3 bitop3:0x54
	s_delay_alu instid0(VALU_DEP_1) | instskip(SKIP_4) | instid1(VALU_DEP_1)
	v_cndmask_b32_e64 v5, v5, v6, s2
	v_cmp_lt_u32_e64 s2, v7, v4
	ds_bpermute_b32 v6, v8, v5
	s_wait_dscnt 0x0
	v_add_f32_e32 v6, v5, v6
	v_cndmask_b32_e64 v4, v5, v6, s2
	s_mov_b32 s2, exec_lo
	s_delay_alu instid0(VALU_DEP_1)
	v_cndmask_b32_e32 v2, v2, v4, vcc_lo
	v_cmpx_eq_u32_e32 0, v1
; %bb.16:
	v_lshrrev_b32_e32 v4, 3, v0
	s_delay_alu instid0(VALU_DEP_1)
	v_and_b32_e32 v4, 28, v4
	ds_store_b32 v4, v2 offset:32
; %bb.17:
	s_or_b32 exec_lo, exec_lo, s2
	s_delay_alu instid0(SALU_CYCLE_1)
	s_mov_b32 s4, exec_lo
	s_wait_dscnt 0x0
	s_barrier_signal -1
	s_barrier_wait -1
	v_cmpx_gt_u32_e32 8, v0
	s_cbranch_execz .LBB0_19
; %bb.18:
	ds_load_b32 v2, v3 offset:32
	v_and_b32_e32 v4, 7, v1
	s_add_co_i32 s3, s3, 31
	v_or_b32_e32 v3, 16, v3
	s_lshr_b32 s3, s3, 5
	s_delay_alu instid0(VALU_DEP_2) | instskip(SKIP_3) | instid1(VALU_DEP_2)
	v_cmp_ne_u32_e32 vcc_lo, 7, v4
	v_add_nc_u32_e32 v7, 1, v4
	v_add_co_ci_u32_e64 v5, null, 0, v1, vcc_lo
	v_cmp_gt_u32_e32 vcc_lo, 6, v4
	v_lshlrev_b32_e32 v5, 2, v5
	v_cndmask_b32_e64 v6, 0, 2, vcc_lo
	v_cmp_gt_u32_e32 vcc_lo, s3, v7
	s_wait_dscnt 0x0
	ds_bpermute_b32 v5, v5, v2
	v_add_lshl_u32 v1, v6, v1, 2
	s_wait_dscnt 0x0
	v_add_f32_e32 v5, v2, v5
	s_delay_alu instid0(VALU_DEP_1) | instskip(SKIP_4) | instid1(VALU_DEP_2)
	v_cndmask_b32_e32 v5, v2, v5, vcc_lo
	ds_bpermute_b32 v1, v1, v5
	s_wait_dscnt 0x0
	v_dual_add_f32 v1, v5, v1 :: v_dual_add_nc_u32 v6, 2, v4
	v_add_nc_u32_e32 v4, 4, v4
	v_cmp_gt_u32_e64 s2, s3, v6
	s_delay_alu instid0(VALU_DEP_1) | instskip(NEXT) | instid1(VALU_DEP_3)
	v_cndmask_b32_e64 v1, v5, v1, s2
	v_cmp_gt_u32_e64 s2, s3, v4
	ds_bpermute_b32 v3, v3, v1
	s_wait_dscnt 0x0
	v_add_f32_e32 v3, v1, v3
	s_delay_alu instid0(VALU_DEP_1) | instskip(NEXT) | instid1(VALU_DEP_1)
	v_cndmask_b32_e64 v1, v1, v3, s2
	v_cndmask_b32_e32 v2, v2, v1, vcc_lo
.LBB0_19:
	s_or_b32 exec_lo, exec_lo, s4
.LBB0_20:
	s_load_b32 s0, s[0:1], 0x30
	s_wait_xcnt 0x0
	s_mov_b32 s1, exec_lo
	v_cmpx_eq_u32_e32 0, v0
	s_cbranch_execz .LBB0_22
; %bb.21:
	s_mul_u64 s[2:3], s[14:15], s[12:13]
	v_mov_b32_e32 v1, 0
	s_lshl_b64 s[2:3], s[2:3], 2
	s_cmp_eq_u64 s[8:9], 0
	s_add_nc_u64 s[2:3], s[10:11], s[2:3]
	s_cselect_b32 s1, -1, 0
	s_wait_kmcnt 0x0
	v_cndmask_b32_e64 v0, v2, s0, s1
	s_lshl_b64 s[0:1], s[6:7], 2
	s_delay_alu instid0(SALU_CYCLE_1)
	s_add_nc_u64 s[0:1], s[2:3], s[0:1]
	global_store_b32 v1, v0, s[0:1]
.LBB0_22:
	s_endpgm
	.section	.rodata,"a",@progbits
	.p2align	6, 0x0
	.amdhsa_kernel _ZN7rocprim17ROCPRIM_400000_NS6detail17trampoline_kernelINS0_14default_configENS1_22reduce_config_selectorIfEEZNS1_11reduce_implILb1ES3_PfS7_fN6thrust23THRUST_200600_302600_NS4plusIfEEEE10hipError_tPvRmT1_T2_T3_mT4_P12ihipStream_tbEUlT_E0_NS1_11comp_targetILNS1_3genE0ELNS1_11target_archE4294967295ELNS1_3gpuE0ELNS1_3repE0EEENS1_30default_config_static_selectorELNS0_4arch9wavefront6targetE0EEEvSF_
		.amdhsa_group_segment_fixed_size 64
		.amdhsa_private_segment_fixed_size 0
		.amdhsa_kernarg_size 56
		.amdhsa_user_sgpr_count 2
		.amdhsa_user_sgpr_dispatch_ptr 0
		.amdhsa_user_sgpr_queue_ptr 0
		.amdhsa_user_sgpr_kernarg_segment_ptr 1
		.amdhsa_user_sgpr_dispatch_id 0
		.amdhsa_user_sgpr_kernarg_preload_length 0
		.amdhsa_user_sgpr_kernarg_preload_offset 0
		.amdhsa_user_sgpr_private_segment_size 0
		.amdhsa_wavefront_size32 1
		.amdhsa_uses_dynamic_stack 0
		.amdhsa_enable_private_segment 0
		.amdhsa_system_sgpr_workgroup_id_x 1
		.amdhsa_system_sgpr_workgroup_id_y 0
		.amdhsa_system_sgpr_workgroup_id_z 0
		.amdhsa_system_sgpr_workgroup_info 0
		.amdhsa_system_vgpr_workitem_id 0
		.amdhsa_next_free_vgpr 9
		.amdhsa_next_free_sgpr 20
		.amdhsa_named_barrier_count 0
		.amdhsa_reserve_vcc 1
		.amdhsa_float_round_mode_32 0
		.amdhsa_float_round_mode_16_64 0
		.amdhsa_float_denorm_mode_32 3
		.amdhsa_float_denorm_mode_16_64 3
		.amdhsa_fp16_overflow 0
		.amdhsa_memory_ordered 1
		.amdhsa_forward_progress 1
		.amdhsa_inst_pref_size 12
		.amdhsa_round_robin_scheduling 0
		.amdhsa_exception_fp_ieee_invalid_op 0
		.amdhsa_exception_fp_denorm_src 0
		.amdhsa_exception_fp_ieee_div_zero 0
		.amdhsa_exception_fp_ieee_overflow 0
		.amdhsa_exception_fp_ieee_underflow 0
		.amdhsa_exception_fp_ieee_inexact 0
		.amdhsa_exception_int_div_zero 0
	.end_amdhsa_kernel
	.section	.text._ZN7rocprim17ROCPRIM_400000_NS6detail17trampoline_kernelINS0_14default_configENS1_22reduce_config_selectorIfEEZNS1_11reduce_implILb1ES3_PfS7_fN6thrust23THRUST_200600_302600_NS4plusIfEEEE10hipError_tPvRmT1_T2_T3_mT4_P12ihipStream_tbEUlT_E0_NS1_11comp_targetILNS1_3genE0ELNS1_11target_archE4294967295ELNS1_3gpuE0ELNS1_3repE0EEENS1_30default_config_static_selectorELNS0_4arch9wavefront6targetE0EEEvSF_,"axG",@progbits,_ZN7rocprim17ROCPRIM_400000_NS6detail17trampoline_kernelINS0_14default_configENS1_22reduce_config_selectorIfEEZNS1_11reduce_implILb1ES3_PfS7_fN6thrust23THRUST_200600_302600_NS4plusIfEEEE10hipError_tPvRmT1_T2_T3_mT4_P12ihipStream_tbEUlT_E0_NS1_11comp_targetILNS1_3genE0ELNS1_11target_archE4294967295ELNS1_3gpuE0ELNS1_3repE0EEENS1_30default_config_static_selectorELNS0_4arch9wavefront6targetE0EEEvSF_,comdat
.Lfunc_end0:
	.size	_ZN7rocprim17ROCPRIM_400000_NS6detail17trampoline_kernelINS0_14default_configENS1_22reduce_config_selectorIfEEZNS1_11reduce_implILb1ES3_PfS7_fN6thrust23THRUST_200600_302600_NS4plusIfEEEE10hipError_tPvRmT1_T2_T3_mT4_P12ihipStream_tbEUlT_E0_NS1_11comp_targetILNS1_3genE0ELNS1_11target_archE4294967295ELNS1_3gpuE0ELNS1_3repE0EEENS1_30default_config_static_selectorELNS0_4arch9wavefront6targetE0EEEvSF_, .Lfunc_end0-_ZN7rocprim17ROCPRIM_400000_NS6detail17trampoline_kernelINS0_14default_configENS1_22reduce_config_selectorIfEEZNS1_11reduce_implILb1ES3_PfS7_fN6thrust23THRUST_200600_302600_NS4plusIfEEEE10hipError_tPvRmT1_T2_T3_mT4_P12ihipStream_tbEUlT_E0_NS1_11comp_targetILNS1_3genE0ELNS1_11target_archE4294967295ELNS1_3gpuE0ELNS1_3repE0EEENS1_30default_config_static_selectorELNS0_4arch9wavefront6targetE0EEEvSF_
                                        ; -- End function
	.set _ZN7rocprim17ROCPRIM_400000_NS6detail17trampoline_kernelINS0_14default_configENS1_22reduce_config_selectorIfEEZNS1_11reduce_implILb1ES3_PfS7_fN6thrust23THRUST_200600_302600_NS4plusIfEEEE10hipError_tPvRmT1_T2_T3_mT4_P12ihipStream_tbEUlT_E0_NS1_11comp_targetILNS1_3genE0ELNS1_11target_archE4294967295ELNS1_3gpuE0ELNS1_3repE0EEENS1_30default_config_static_selectorELNS0_4arch9wavefront6targetE0EEEvSF_.num_vgpr, 9
	.set _ZN7rocprim17ROCPRIM_400000_NS6detail17trampoline_kernelINS0_14default_configENS1_22reduce_config_selectorIfEEZNS1_11reduce_implILb1ES3_PfS7_fN6thrust23THRUST_200600_302600_NS4plusIfEEEE10hipError_tPvRmT1_T2_T3_mT4_P12ihipStream_tbEUlT_E0_NS1_11comp_targetILNS1_3genE0ELNS1_11target_archE4294967295ELNS1_3gpuE0ELNS1_3repE0EEENS1_30default_config_static_selectorELNS0_4arch9wavefront6targetE0EEEvSF_.num_agpr, 0
	.set _ZN7rocprim17ROCPRIM_400000_NS6detail17trampoline_kernelINS0_14default_configENS1_22reduce_config_selectorIfEEZNS1_11reduce_implILb1ES3_PfS7_fN6thrust23THRUST_200600_302600_NS4plusIfEEEE10hipError_tPvRmT1_T2_T3_mT4_P12ihipStream_tbEUlT_E0_NS1_11comp_targetILNS1_3genE0ELNS1_11target_archE4294967295ELNS1_3gpuE0ELNS1_3repE0EEENS1_30default_config_static_selectorELNS0_4arch9wavefront6targetE0EEEvSF_.numbered_sgpr, 20
	.set _ZN7rocprim17ROCPRIM_400000_NS6detail17trampoline_kernelINS0_14default_configENS1_22reduce_config_selectorIfEEZNS1_11reduce_implILb1ES3_PfS7_fN6thrust23THRUST_200600_302600_NS4plusIfEEEE10hipError_tPvRmT1_T2_T3_mT4_P12ihipStream_tbEUlT_E0_NS1_11comp_targetILNS1_3genE0ELNS1_11target_archE4294967295ELNS1_3gpuE0ELNS1_3repE0EEENS1_30default_config_static_selectorELNS0_4arch9wavefront6targetE0EEEvSF_.num_named_barrier, 0
	.set _ZN7rocprim17ROCPRIM_400000_NS6detail17trampoline_kernelINS0_14default_configENS1_22reduce_config_selectorIfEEZNS1_11reduce_implILb1ES3_PfS7_fN6thrust23THRUST_200600_302600_NS4plusIfEEEE10hipError_tPvRmT1_T2_T3_mT4_P12ihipStream_tbEUlT_E0_NS1_11comp_targetILNS1_3genE0ELNS1_11target_archE4294967295ELNS1_3gpuE0ELNS1_3repE0EEENS1_30default_config_static_selectorELNS0_4arch9wavefront6targetE0EEEvSF_.private_seg_size, 0
	.set _ZN7rocprim17ROCPRIM_400000_NS6detail17trampoline_kernelINS0_14default_configENS1_22reduce_config_selectorIfEEZNS1_11reduce_implILb1ES3_PfS7_fN6thrust23THRUST_200600_302600_NS4plusIfEEEE10hipError_tPvRmT1_T2_T3_mT4_P12ihipStream_tbEUlT_E0_NS1_11comp_targetILNS1_3genE0ELNS1_11target_archE4294967295ELNS1_3gpuE0ELNS1_3repE0EEENS1_30default_config_static_selectorELNS0_4arch9wavefront6targetE0EEEvSF_.uses_vcc, 1
	.set _ZN7rocprim17ROCPRIM_400000_NS6detail17trampoline_kernelINS0_14default_configENS1_22reduce_config_selectorIfEEZNS1_11reduce_implILb1ES3_PfS7_fN6thrust23THRUST_200600_302600_NS4plusIfEEEE10hipError_tPvRmT1_T2_T3_mT4_P12ihipStream_tbEUlT_E0_NS1_11comp_targetILNS1_3genE0ELNS1_11target_archE4294967295ELNS1_3gpuE0ELNS1_3repE0EEENS1_30default_config_static_selectorELNS0_4arch9wavefront6targetE0EEEvSF_.uses_flat_scratch, 0
	.set _ZN7rocprim17ROCPRIM_400000_NS6detail17trampoline_kernelINS0_14default_configENS1_22reduce_config_selectorIfEEZNS1_11reduce_implILb1ES3_PfS7_fN6thrust23THRUST_200600_302600_NS4plusIfEEEE10hipError_tPvRmT1_T2_T3_mT4_P12ihipStream_tbEUlT_E0_NS1_11comp_targetILNS1_3genE0ELNS1_11target_archE4294967295ELNS1_3gpuE0ELNS1_3repE0EEENS1_30default_config_static_selectorELNS0_4arch9wavefront6targetE0EEEvSF_.has_dyn_sized_stack, 0
	.set _ZN7rocprim17ROCPRIM_400000_NS6detail17trampoline_kernelINS0_14default_configENS1_22reduce_config_selectorIfEEZNS1_11reduce_implILb1ES3_PfS7_fN6thrust23THRUST_200600_302600_NS4plusIfEEEE10hipError_tPvRmT1_T2_T3_mT4_P12ihipStream_tbEUlT_E0_NS1_11comp_targetILNS1_3genE0ELNS1_11target_archE4294967295ELNS1_3gpuE0ELNS1_3repE0EEENS1_30default_config_static_selectorELNS0_4arch9wavefront6targetE0EEEvSF_.has_recursion, 0
	.set _ZN7rocprim17ROCPRIM_400000_NS6detail17trampoline_kernelINS0_14default_configENS1_22reduce_config_selectorIfEEZNS1_11reduce_implILb1ES3_PfS7_fN6thrust23THRUST_200600_302600_NS4plusIfEEEE10hipError_tPvRmT1_T2_T3_mT4_P12ihipStream_tbEUlT_E0_NS1_11comp_targetILNS1_3genE0ELNS1_11target_archE4294967295ELNS1_3gpuE0ELNS1_3repE0EEENS1_30default_config_static_selectorELNS0_4arch9wavefront6targetE0EEEvSF_.has_indirect_call, 0
	.section	.AMDGPU.csdata,"",@progbits
; Kernel info:
; codeLenInByte = 1416
; TotalNumSgprs: 22
; NumVgprs: 9
; ScratchSize: 0
; MemoryBound: 0
; FloatMode: 240
; IeeeMode: 1
; LDSByteSize: 64 bytes/workgroup (compile time only)
; SGPRBlocks: 0
; VGPRBlocks: 0
; NumSGPRsForWavesPerEU: 22
; NumVGPRsForWavesPerEU: 9
; NamedBarCnt: 0
; Occupancy: 16
; WaveLimiterHint : 1
; COMPUTE_PGM_RSRC2:SCRATCH_EN: 0
; COMPUTE_PGM_RSRC2:USER_SGPR: 2
; COMPUTE_PGM_RSRC2:TRAP_HANDLER: 0
; COMPUTE_PGM_RSRC2:TGID_X_EN: 1
; COMPUTE_PGM_RSRC2:TGID_Y_EN: 0
; COMPUTE_PGM_RSRC2:TGID_Z_EN: 0
; COMPUTE_PGM_RSRC2:TIDIG_COMP_CNT: 0
	.section	.text._ZN7rocprim17ROCPRIM_400000_NS6detail17trampoline_kernelINS0_14default_configENS1_22reduce_config_selectorIfEEZNS1_11reduce_implILb1ES3_PfS7_fN6thrust23THRUST_200600_302600_NS4plusIfEEEE10hipError_tPvRmT1_T2_T3_mT4_P12ihipStream_tbEUlT_E0_NS1_11comp_targetILNS1_3genE5ELNS1_11target_archE942ELNS1_3gpuE9ELNS1_3repE0EEENS1_30default_config_static_selectorELNS0_4arch9wavefront6targetE0EEEvSF_,"axG",@progbits,_ZN7rocprim17ROCPRIM_400000_NS6detail17trampoline_kernelINS0_14default_configENS1_22reduce_config_selectorIfEEZNS1_11reduce_implILb1ES3_PfS7_fN6thrust23THRUST_200600_302600_NS4plusIfEEEE10hipError_tPvRmT1_T2_T3_mT4_P12ihipStream_tbEUlT_E0_NS1_11comp_targetILNS1_3genE5ELNS1_11target_archE942ELNS1_3gpuE9ELNS1_3repE0EEENS1_30default_config_static_selectorELNS0_4arch9wavefront6targetE0EEEvSF_,comdat
	.protected	_ZN7rocprim17ROCPRIM_400000_NS6detail17trampoline_kernelINS0_14default_configENS1_22reduce_config_selectorIfEEZNS1_11reduce_implILb1ES3_PfS7_fN6thrust23THRUST_200600_302600_NS4plusIfEEEE10hipError_tPvRmT1_T2_T3_mT4_P12ihipStream_tbEUlT_E0_NS1_11comp_targetILNS1_3genE5ELNS1_11target_archE942ELNS1_3gpuE9ELNS1_3repE0EEENS1_30default_config_static_selectorELNS0_4arch9wavefront6targetE0EEEvSF_ ; -- Begin function _ZN7rocprim17ROCPRIM_400000_NS6detail17trampoline_kernelINS0_14default_configENS1_22reduce_config_selectorIfEEZNS1_11reduce_implILb1ES3_PfS7_fN6thrust23THRUST_200600_302600_NS4plusIfEEEE10hipError_tPvRmT1_T2_T3_mT4_P12ihipStream_tbEUlT_E0_NS1_11comp_targetILNS1_3genE5ELNS1_11target_archE942ELNS1_3gpuE9ELNS1_3repE0EEENS1_30default_config_static_selectorELNS0_4arch9wavefront6targetE0EEEvSF_
	.globl	_ZN7rocprim17ROCPRIM_400000_NS6detail17trampoline_kernelINS0_14default_configENS1_22reduce_config_selectorIfEEZNS1_11reduce_implILb1ES3_PfS7_fN6thrust23THRUST_200600_302600_NS4plusIfEEEE10hipError_tPvRmT1_T2_T3_mT4_P12ihipStream_tbEUlT_E0_NS1_11comp_targetILNS1_3genE5ELNS1_11target_archE942ELNS1_3gpuE9ELNS1_3repE0EEENS1_30default_config_static_selectorELNS0_4arch9wavefront6targetE0EEEvSF_
	.p2align	8
	.type	_ZN7rocprim17ROCPRIM_400000_NS6detail17trampoline_kernelINS0_14default_configENS1_22reduce_config_selectorIfEEZNS1_11reduce_implILb1ES3_PfS7_fN6thrust23THRUST_200600_302600_NS4plusIfEEEE10hipError_tPvRmT1_T2_T3_mT4_P12ihipStream_tbEUlT_E0_NS1_11comp_targetILNS1_3genE5ELNS1_11target_archE942ELNS1_3gpuE9ELNS1_3repE0EEENS1_30default_config_static_selectorELNS0_4arch9wavefront6targetE0EEEvSF_,@function
_ZN7rocprim17ROCPRIM_400000_NS6detail17trampoline_kernelINS0_14default_configENS1_22reduce_config_selectorIfEEZNS1_11reduce_implILb1ES3_PfS7_fN6thrust23THRUST_200600_302600_NS4plusIfEEEE10hipError_tPvRmT1_T2_T3_mT4_P12ihipStream_tbEUlT_E0_NS1_11comp_targetILNS1_3genE5ELNS1_11target_archE942ELNS1_3gpuE9ELNS1_3repE0EEENS1_30default_config_static_selectorELNS0_4arch9wavefront6targetE0EEEvSF_: ; @_ZN7rocprim17ROCPRIM_400000_NS6detail17trampoline_kernelINS0_14default_configENS1_22reduce_config_selectorIfEEZNS1_11reduce_implILb1ES3_PfS7_fN6thrust23THRUST_200600_302600_NS4plusIfEEEE10hipError_tPvRmT1_T2_T3_mT4_P12ihipStream_tbEUlT_E0_NS1_11comp_targetILNS1_3genE5ELNS1_11target_archE942ELNS1_3gpuE9ELNS1_3repE0EEENS1_30default_config_static_selectorELNS0_4arch9wavefront6targetE0EEEvSF_
; %bb.0:
	.section	.rodata,"a",@progbits
	.p2align	6, 0x0
	.amdhsa_kernel _ZN7rocprim17ROCPRIM_400000_NS6detail17trampoline_kernelINS0_14default_configENS1_22reduce_config_selectorIfEEZNS1_11reduce_implILb1ES3_PfS7_fN6thrust23THRUST_200600_302600_NS4plusIfEEEE10hipError_tPvRmT1_T2_T3_mT4_P12ihipStream_tbEUlT_E0_NS1_11comp_targetILNS1_3genE5ELNS1_11target_archE942ELNS1_3gpuE9ELNS1_3repE0EEENS1_30default_config_static_selectorELNS0_4arch9wavefront6targetE0EEEvSF_
		.amdhsa_group_segment_fixed_size 0
		.amdhsa_private_segment_fixed_size 0
		.amdhsa_kernarg_size 56
		.amdhsa_user_sgpr_count 2
		.amdhsa_user_sgpr_dispatch_ptr 0
		.amdhsa_user_sgpr_queue_ptr 0
		.amdhsa_user_sgpr_kernarg_segment_ptr 1
		.amdhsa_user_sgpr_dispatch_id 0
		.amdhsa_user_sgpr_kernarg_preload_length 0
		.amdhsa_user_sgpr_kernarg_preload_offset 0
		.amdhsa_user_sgpr_private_segment_size 0
		.amdhsa_wavefront_size32 1
		.amdhsa_uses_dynamic_stack 0
		.amdhsa_enable_private_segment 0
		.amdhsa_system_sgpr_workgroup_id_x 1
		.amdhsa_system_sgpr_workgroup_id_y 0
		.amdhsa_system_sgpr_workgroup_id_z 0
		.amdhsa_system_sgpr_workgroup_info 0
		.amdhsa_system_vgpr_workitem_id 0
		.amdhsa_next_free_vgpr 1
		.amdhsa_next_free_sgpr 1
		.amdhsa_named_barrier_count 0
		.amdhsa_reserve_vcc 0
		.amdhsa_float_round_mode_32 0
		.amdhsa_float_round_mode_16_64 0
		.amdhsa_float_denorm_mode_32 3
		.amdhsa_float_denorm_mode_16_64 3
		.amdhsa_fp16_overflow 0
		.amdhsa_memory_ordered 1
		.amdhsa_forward_progress 1
		.amdhsa_inst_pref_size 0
		.amdhsa_round_robin_scheduling 0
		.amdhsa_exception_fp_ieee_invalid_op 0
		.amdhsa_exception_fp_denorm_src 0
		.amdhsa_exception_fp_ieee_div_zero 0
		.amdhsa_exception_fp_ieee_overflow 0
		.amdhsa_exception_fp_ieee_underflow 0
		.amdhsa_exception_fp_ieee_inexact 0
		.amdhsa_exception_int_div_zero 0
	.end_amdhsa_kernel
	.section	.text._ZN7rocprim17ROCPRIM_400000_NS6detail17trampoline_kernelINS0_14default_configENS1_22reduce_config_selectorIfEEZNS1_11reduce_implILb1ES3_PfS7_fN6thrust23THRUST_200600_302600_NS4plusIfEEEE10hipError_tPvRmT1_T2_T3_mT4_P12ihipStream_tbEUlT_E0_NS1_11comp_targetILNS1_3genE5ELNS1_11target_archE942ELNS1_3gpuE9ELNS1_3repE0EEENS1_30default_config_static_selectorELNS0_4arch9wavefront6targetE0EEEvSF_,"axG",@progbits,_ZN7rocprim17ROCPRIM_400000_NS6detail17trampoline_kernelINS0_14default_configENS1_22reduce_config_selectorIfEEZNS1_11reduce_implILb1ES3_PfS7_fN6thrust23THRUST_200600_302600_NS4plusIfEEEE10hipError_tPvRmT1_T2_T3_mT4_P12ihipStream_tbEUlT_E0_NS1_11comp_targetILNS1_3genE5ELNS1_11target_archE942ELNS1_3gpuE9ELNS1_3repE0EEENS1_30default_config_static_selectorELNS0_4arch9wavefront6targetE0EEEvSF_,comdat
.Lfunc_end1:
	.size	_ZN7rocprim17ROCPRIM_400000_NS6detail17trampoline_kernelINS0_14default_configENS1_22reduce_config_selectorIfEEZNS1_11reduce_implILb1ES3_PfS7_fN6thrust23THRUST_200600_302600_NS4plusIfEEEE10hipError_tPvRmT1_T2_T3_mT4_P12ihipStream_tbEUlT_E0_NS1_11comp_targetILNS1_3genE5ELNS1_11target_archE942ELNS1_3gpuE9ELNS1_3repE0EEENS1_30default_config_static_selectorELNS0_4arch9wavefront6targetE0EEEvSF_, .Lfunc_end1-_ZN7rocprim17ROCPRIM_400000_NS6detail17trampoline_kernelINS0_14default_configENS1_22reduce_config_selectorIfEEZNS1_11reduce_implILb1ES3_PfS7_fN6thrust23THRUST_200600_302600_NS4plusIfEEEE10hipError_tPvRmT1_T2_T3_mT4_P12ihipStream_tbEUlT_E0_NS1_11comp_targetILNS1_3genE5ELNS1_11target_archE942ELNS1_3gpuE9ELNS1_3repE0EEENS1_30default_config_static_selectorELNS0_4arch9wavefront6targetE0EEEvSF_
                                        ; -- End function
	.set _ZN7rocprim17ROCPRIM_400000_NS6detail17trampoline_kernelINS0_14default_configENS1_22reduce_config_selectorIfEEZNS1_11reduce_implILb1ES3_PfS7_fN6thrust23THRUST_200600_302600_NS4plusIfEEEE10hipError_tPvRmT1_T2_T3_mT4_P12ihipStream_tbEUlT_E0_NS1_11comp_targetILNS1_3genE5ELNS1_11target_archE942ELNS1_3gpuE9ELNS1_3repE0EEENS1_30default_config_static_selectorELNS0_4arch9wavefront6targetE0EEEvSF_.num_vgpr, 0
	.set _ZN7rocprim17ROCPRIM_400000_NS6detail17trampoline_kernelINS0_14default_configENS1_22reduce_config_selectorIfEEZNS1_11reduce_implILb1ES3_PfS7_fN6thrust23THRUST_200600_302600_NS4plusIfEEEE10hipError_tPvRmT1_T2_T3_mT4_P12ihipStream_tbEUlT_E0_NS1_11comp_targetILNS1_3genE5ELNS1_11target_archE942ELNS1_3gpuE9ELNS1_3repE0EEENS1_30default_config_static_selectorELNS0_4arch9wavefront6targetE0EEEvSF_.num_agpr, 0
	.set _ZN7rocprim17ROCPRIM_400000_NS6detail17trampoline_kernelINS0_14default_configENS1_22reduce_config_selectorIfEEZNS1_11reduce_implILb1ES3_PfS7_fN6thrust23THRUST_200600_302600_NS4plusIfEEEE10hipError_tPvRmT1_T2_T3_mT4_P12ihipStream_tbEUlT_E0_NS1_11comp_targetILNS1_3genE5ELNS1_11target_archE942ELNS1_3gpuE9ELNS1_3repE0EEENS1_30default_config_static_selectorELNS0_4arch9wavefront6targetE0EEEvSF_.numbered_sgpr, 0
	.set _ZN7rocprim17ROCPRIM_400000_NS6detail17trampoline_kernelINS0_14default_configENS1_22reduce_config_selectorIfEEZNS1_11reduce_implILb1ES3_PfS7_fN6thrust23THRUST_200600_302600_NS4plusIfEEEE10hipError_tPvRmT1_T2_T3_mT4_P12ihipStream_tbEUlT_E0_NS1_11comp_targetILNS1_3genE5ELNS1_11target_archE942ELNS1_3gpuE9ELNS1_3repE0EEENS1_30default_config_static_selectorELNS0_4arch9wavefront6targetE0EEEvSF_.num_named_barrier, 0
	.set _ZN7rocprim17ROCPRIM_400000_NS6detail17trampoline_kernelINS0_14default_configENS1_22reduce_config_selectorIfEEZNS1_11reduce_implILb1ES3_PfS7_fN6thrust23THRUST_200600_302600_NS4plusIfEEEE10hipError_tPvRmT1_T2_T3_mT4_P12ihipStream_tbEUlT_E0_NS1_11comp_targetILNS1_3genE5ELNS1_11target_archE942ELNS1_3gpuE9ELNS1_3repE0EEENS1_30default_config_static_selectorELNS0_4arch9wavefront6targetE0EEEvSF_.private_seg_size, 0
	.set _ZN7rocprim17ROCPRIM_400000_NS6detail17trampoline_kernelINS0_14default_configENS1_22reduce_config_selectorIfEEZNS1_11reduce_implILb1ES3_PfS7_fN6thrust23THRUST_200600_302600_NS4plusIfEEEE10hipError_tPvRmT1_T2_T3_mT4_P12ihipStream_tbEUlT_E0_NS1_11comp_targetILNS1_3genE5ELNS1_11target_archE942ELNS1_3gpuE9ELNS1_3repE0EEENS1_30default_config_static_selectorELNS0_4arch9wavefront6targetE0EEEvSF_.uses_vcc, 0
	.set _ZN7rocprim17ROCPRIM_400000_NS6detail17trampoline_kernelINS0_14default_configENS1_22reduce_config_selectorIfEEZNS1_11reduce_implILb1ES3_PfS7_fN6thrust23THRUST_200600_302600_NS4plusIfEEEE10hipError_tPvRmT1_T2_T3_mT4_P12ihipStream_tbEUlT_E0_NS1_11comp_targetILNS1_3genE5ELNS1_11target_archE942ELNS1_3gpuE9ELNS1_3repE0EEENS1_30default_config_static_selectorELNS0_4arch9wavefront6targetE0EEEvSF_.uses_flat_scratch, 0
	.set _ZN7rocprim17ROCPRIM_400000_NS6detail17trampoline_kernelINS0_14default_configENS1_22reduce_config_selectorIfEEZNS1_11reduce_implILb1ES3_PfS7_fN6thrust23THRUST_200600_302600_NS4plusIfEEEE10hipError_tPvRmT1_T2_T3_mT4_P12ihipStream_tbEUlT_E0_NS1_11comp_targetILNS1_3genE5ELNS1_11target_archE942ELNS1_3gpuE9ELNS1_3repE0EEENS1_30default_config_static_selectorELNS0_4arch9wavefront6targetE0EEEvSF_.has_dyn_sized_stack, 0
	.set _ZN7rocprim17ROCPRIM_400000_NS6detail17trampoline_kernelINS0_14default_configENS1_22reduce_config_selectorIfEEZNS1_11reduce_implILb1ES3_PfS7_fN6thrust23THRUST_200600_302600_NS4plusIfEEEE10hipError_tPvRmT1_T2_T3_mT4_P12ihipStream_tbEUlT_E0_NS1_11comp_targetILNS1_3genE5ELNS1_11target_archE942ELNS1_3gpuE9ELNS1_3repE0EEENS1_30default_config_static_selectorELNS0_4arch9wavefront6targetE0EEEvSF_.has_recursion, 0
	.set _ZN7rocprim17ROCPRIM_400000_NS6detail17trampoline_kernelINS0_14default_configENS1_22reduce_config_selectorIfEEZNS1_11reduce_implILb1ES3_PfS7_fN6thrust23THRUST_200600_302600_NS4plusIfEEEE10hipError_tPvRmT1_T2_T3_mT4_P12ihipStream_tbEUlT_E0_NS1_11comp_targetILNS1_3genE5ELNS1_11target_archE942ELNS1_3gpuE9ELNS1_3repE0EEENS1_30default_config_static_selectorELNS0_4arch9wavefront6targetE0EEEvSF_.has_indirect_call, 0
	.section	.AMDGPU.csdata,"",@progbits
; Kernel info:
; codeLenInByte = 0
; TotalNumSgprs: 0
; NumVgprs: 0
; ScratchSize: 0
; MemoryBound: 0
; FloatMode: 240
; IeeeMode: 1
; LDSByteSize: 0 bytes/workgroup (compile time only)
; SGPRBlocks: 0
; VGPRBlocks: 0
; NumSGPRsForWavesPerEU: 1
; NumVGPRsForWavesPerEU: 1
; NamedBarCnt: 0
; Occupancy: 16
; WaveLimiterHint : 0
; COMPUTE_PGM_RSRC2:SCRATCH_EN: 0
; COMPUTE_PGM_RSRC2:USER_SGPR: 2
; COMPUTE_PGM_RSRC2:TRAP_HANDLER: 0
; COMPUTE_PGM_RSRC2:TGID_X_EN: 1
; COMPUTE_PGM_RSRC2:TGID_Y_EN: 0
; COMPUTE_PGM_RSRC2:TGID_Z_EN: 0
; COMPUTE_PGM_RSRC2:TIDIG_COMP_CNT: 0
	.section	.text._ZN7rocprim17ROCPRIM_400000_NS6detail17trampoline_kernelINS0_14default_configENS1_22reduce_config_selectorIfEEZNS1_11reduce_implILb1ES3_PfS7_fN6thrust23THRUST_200600_302600_NS4plusIfEEEE10hipError_tPvRmT1_T2_T3_mT4_P12ihipStream_tbEUlT_E0_NS1_11comp_targetILNS1_3genE4ELNS1_11target_archE910ELNS1_3gpuE8ELNS1_3repE0EEENS1_30default_config_static_selectorELNS0_4arch9wavefront6targetE0EEEvSF_,"axG",@progbits,_ZN7rocprim17ROCPRIM_400000_NS6detail17trampoline_kernelINS0_14default_configENS1_22reduce_config_selectorIfEEZNS1_11reduce_implILb1ES3_PfS7_fN6thrust23THRUST_200600_302600_NS4plusIfEEEE10hipError_tPvRmT1_T2_T3_mT4_P12ihipStream_tbEUlT_E0_NS1_11comp_targetILNS1_3genE4ELNS1_11target_archE910ELNS1_3gpuE8ELNS1_3repE0EEENS1_30default_config_static_selectorELNS0_4arch9wavefront6targetE0EEEvSF_,comdat
	.protected	_ZN7rocprim17ROCPRIM_400000_NS6detail17trampoline_kernelINS0_14default_configENS1_22reduce_config_selectorIfEEZNS1_11reduce_implILb1ES3_PfS7_fN6thrust23THRUST_200600_302600_NS4plusIfEEEE10hipError_tPvRmT1_T2_T3_mT4_P12ihipStream_tbEUlT_E0_NS1_11comp_targetILNS1_3genE4ELNS1_11target_archE910ELNS1_3gpuE8ELNS1_3repE0EEENS1_30default_config_static_selectorELNS0_4arch9wavefront6targetE0EEEvSF_ ; -- Begin function _ZN7rocprim17ROCPRIM_400000_NS6detail17trampoline_kernelINS0_14default_configENS1_22reduce_config_selectorIfEEZNS1_11reduce_implILb1ES3_PfS7_fN6thrust23THRUST_200600_302600_NS4plusIfEEEE10hipError_tPvRmT1_T2_T3_mT4_P12ihipStream_tbEUlT_E0_NS1_11comp_targetILNS1_3genE4ELNS1_11target_archE910ELNS1_3gpuE8ELNS1_3repE0EEENS1_30default_config_static_selectorELNS0_4arch9wavefront6targetE0EEEvSF_
	.globl	_ZN7rocprim17ROCPRIM_400000_NS6detail17trampoline_kernelINS0_14default_configENS1_22reduce_config_selectorIfEEZNS1_11reduce_implILb1ES3_PfS7_fN6thrust23THRUST_200600_302600_NS4plusIfEEEE10hipError_tPvRmT1_T2_T3_mT4_P12ihipStream_tbEUlT_E0_NS1_11comp_targetILNS1_3genE4ELNS1_11target_archE910ELNS1_3gpuE8ELNS1_3repE0EEENS1_30default_config_static_selectorELNS0_4arch9wavefront6targetE0EEEvSF_
	.p2align	8
	.type	_ZN7rocprim17ROCPRIM_400000_NS6detail17trampoline_kernelINS0_14default_configENS1_22reduce_config_selectorIfEEZNS1_11reduce_implILb1ES3_PfS7_fN6thrust23THRUST_200600_302600_NS4plusIfEEEE10hipError_tPvRmT1_T2_T3_mT4_P12ihipStream_tbEUlT_E0_NS1_11comp_targetILNS1_3genE4ELNS1_11target_archE910ELNS1_3gpuE8ELNS1_3repE0EEENS1_30default_config_static_selectorELNS0_4arch9wavefront6targetE0EEEvSF_,@function
_ZN7rocprim17ROCPRIM_400000_NS6detail17trampoline_kernelINS0_14default_configENS1_22reduce_config_selectorIfEEZNS1_11reduce_implILb1ES3_PfS7_fN6thrust23THRUST_200600_302600_NS4plusIfEEEE10hipError_tPvRmT1_T2_T3_mT4_P12ihipStream_tbEUlT_E0_NS1_11comp_targetILNS1_3genE4ELNS1_11target_archE910ELNS1_3gpuE8ELNS1_3repE0EEENS1_30default_config_static_selectorELNS0_4arch9wavefront6targetE0EEEvSF_: ; @_ZN7rocprim17ROCPRIM_400000_NS6detail17trampoline_kernelINS0_14default_configENS1_22reduce_config_selectorIfEEZNS1_11reduce_implILb1ES3_PfS7_fN6thrust23THRUST_200600_302600_NS4plusIfEEEE10hipError_tPvRmT1_T2_T3_mT4_P12ihipStream_tbEUlT_E0_NS1_11comp_targetILNS1_3genE4ELNS1_11target_archE910ELNS1_3gpuE8ELNS1_3repE0EEENS1_30default_config_static_selectorELNS0_4arch9wavefront6targetE0EEEvSF_
; %bb.0:
	.section	.rodata,"a",@progbits
	.p2align	6, 0x0
	.amdhsa_kernel _ZN7rocprim17ROCPRIM_400000_NS6detail17trampoline_kernelINS0_14default_configENS1_22reduce_config_selectorIfEEZNS1_11reduce_implILb1ES3_PfS7_fN6thrust23THRUST_200600_302600_NS4plusIfEEEE10hipError_tPvRmT1_T2_T3_mT4_P12ihipStream_tbEUlT_E0_NS1_11comp_targetILNS1_3genE4ELNS1_11target_archE910ELNS1_3gpuE8ELNS1_3repE0EEENS1_30default_config_static_selectorELNS0_4arch9wavefront6targetE0EEEvSF_
		.amdhsa_group_segment_fixed_size 0
		.amdhsa_private_segment_fixed_size 0
		.amdhsa_kernarg_size 56
		.amdhsa_user_sgpr_count 2
		.amdhsa_user_sgpr_dispatch_ptr 0
		.amdhsa_user_sgpr_queue_ptr 0
		.amdhsa_user_sgpr_kernarg_segment_ptr 1
		.amdhsa_user_sgpr_dispatch_id 0
		.amdhsa_user_sgpr_kernarg_preload_length 0
		.amdhsa_user_sgpr_kernarg_preload_offset 0
		.amdhsa_user_sgpr_private_segment_size 0
		.amdhsa_wavefront_size32 1
		.amdhsa_uses_dynamic_stack 0
		.amdhsa_enable_private_segment 0
		.amdhsa_system_sgpr_workgroup_id_x 1
		.amdhsa_system_sgpr_workgroup_id_y 0
		.amdhsa_system_sgpr_workgroup_id_z 0
		.amdhsa_system_sgpr_workgroup_info 0
		.amdhsa_system_vgpr_workitem_id 0
		.amdhsa_next_free_vgpr 1
		.amdhsa_next_free_sgpr 1
		.amdhsa_named_barrier_count 0
		.amdhsa_reserve_vcc 0
		.amdhsa_float_round_mode_32 0
		.amdhsa_float_round_mode_16_64 0
		.amdhsa_float_denorm_mode_32 3
		.amdhsa_float_denorm_mode_16_64 3
		.amdhsa_fp16_overflow 0
		.amdhsa_memory_ordered 1
		.amdhsa_forward_progress 1
		.amdhsa_inst_pref_size 0
		.amdhsa_round_robin_scheduling 0
		.amdhsa_exception_fp_ieee_invalid_op 0
		.amdhsa_exception_fp_denorm_src 0
		.amdhsa_exception_fp_ieee_div_zero 0
		.amdhsa_exception_fp_ieee_overflow 0
		.amdhsa_exception_fp_ieee_underflow 0
		.amdhsa_exception_fp_ieee_inexact 0
		.amdhsa_exception_int_div_zero 0
	.end_amdhsa_kernel
	.section	.text._ZN7rocprim17ROCPRIM_400000_NS6detail17trampoline_kernelINS0_14default_configENS1_22reduce_config_selectorIfEEZNS1_11reduce_implILb1ES3_PfS7_fN6thrust23THRUST_200600_302600_NS4plusIfEEEE10hipError_tPvRmT1_T2_T3_mT4_P12ihipStream_tbEUlT_E0_NS1_11comp_targetILNS1_3genE4ELNS1_11target_archE910ELNS1_3gpuE8ELNS1_3repE0EEENS1_30default_config_static_selectorELNS0_4arch9wavefront6targetE0EEEvSF_,"axG",@progbits,_ZN7rocprim17ROCPRIM_400000_NS6detail17trampoline_kernelINS0_14default_configENS1_22reduce_config_selectorIfEEZNS1_11reduce_implILb1ES3_PfS7_fN6thrust23THRUST_200600_302600_NS4plusIfEEEE10hipError_tPvRmT1_T2_T3_mT4_P12ihipStream_tbEUlT_E0_NS1_11comp_targetILNS1_3genE4ELNS1_11target_archE910ELNS1_3gpuE8ELNS1_3repE0EEENS1_30default_config_static_selectorELNS0_4arch9wavefront6targetE0EEEvSF_,comdat
.Lfunc_end2:
	.size	_ZN7rocprim17ROCPRIM_400000_NS6detail17trampoline_kernelINS0_14default_configENS1_22reduce_config_selectorIfEEZNS1_11reduce_implILb1ES3_PfS7_fN6thrust23THRUST_200600_302600_NS4plusIfEEEE10hipError_tPvRmT1_T2_T3_mT4_P12ihipStream_tbEUlT_E0_NS1_11comp_targetILNS1_3genE4ELNS1_11target_archE910ELNS1_3gpuE8ELNS1_3repE0EEENS1_30default_config_static_selectorELNS0_4arch9wavefront6targetE0EEEvSF_, .Lfunc_end2-_ZN7rocprim17ROCPRIM_400000_NS6detail17trampoline_kernelINS0_14default_configENS1_22reduce_config_selectorIfEEZNS1_11reduce_implILb1ES3_PfS7_fN6thrust23THRUST_200600_302600_NS4plusIfEEEE10hipError_tPvRmT1_T2_T3_mT4_P12ihipStream_tbEUlT_E0_NS1_11comp_targetILNS1_3genE4ELNS1_11target_archE910ELNS1_3gpuE8ELNS1_3repE0EEENS1_30default_config_static_selectorELNS0_4arch9wavefront6targetE0EEEvSF_
                                        ; -- End function
	.set _ZN7rocprim17ROCPRIM_400000_NS6detail17trampoline_kernelINS0_14default_configENS1_22reduce_config_selectorIfEEZNS1_11reduce_implILb1ES3_PfS7_fN6thrust23THRUST_200600_302600_NS4plusIfEEEE10hipError_tPvRmT1_T2_T3_mT4_P12ihipStream_tbEUlT_E0_NS1_11comp_targetILNS1_3genE4ELNS1_11target_archE910ELNS1_3gpuE8ELNS1_3repE0EEENS1_30default_config_static_selectorELNS0_4arch9wavefront6targetE0EEEvSF_.num_vgpr, 0
	.set _ZN7rocprim17ROCPRIM_400000_NS6detail17trampoline_kernelINS0_14default_configENS1_22reduce_config_selectorIfEEZNS1_11reduce_implILb1ES3_PfS7_fN6thrust23THRUST_200600_302600_NS4plusIfEEEE10hipError_tPvRmT1_T2_T3_mT4_P12ihipStream_tbEUlT_E0_NS1_11comp_targetILNS1_3genE4ELNS1_11target_archE910ELNS1_3gpuE8ELNS1_3repE0EEENS1_30default_config_static_selectorELNS0_4arch9wavefront6targetE0EEEvSF_.num_agpr, 0
	.set _ZN7rocprim17ROCPRIM_400000_NS6detail17trampoline_kernelINS0_14default_configENS1_22reduce_config_selectorIfEEZNS1_11reduce_implILb1ES3_PfS7_fN6thrust23THRUST_200600_302600_NS4plusIfEEEE10hipError_tPvRmT1_T2_T3_mT4_P12ihipStream_tbEUlT_E0_NS1_11comp_targetILNS1_3genE4ELNS1_11target_archE910ELNS1_3gpuE8ELNS1_3repE0EEENS1_30default_config_static_selectorELNS0_4arch9wavefront6targetE0EEEvSF_.numbered_sgpr, 0
	.set _ZN7rocprim17ROCPRIM_400000_NS6detail17trampoline_kernelINS0_14default_configENS1_22reduce_config_selectorIfEEZNS1_11reduce_implILb1ES3_PfS7_fN6thrust23THRUST_200600_302600_NS4plusIfEEEE10hipError_tPvRmT1_T2_T3_mT4_P12ihipStream_tbEUlT_E0_NS1_11comp_targetILNS1_3genE4ELNS1_11target_archE910ELNS1_3gpuE8ELNS1_3repE0EEENS1_30default_config_static_selectorELNS0_4arch9wavefront6targetE0EEEvSF_.num_named_barrier, 0
	.set _ZN7rocprim17ROCPRIM_400000_NS6detail17trampoline_kernelINS0_14default_configENS1_22reduce_config_selectorIfEEZNS1_11reduce_implILb1ES3_PfS7_fN6thrust23THRUST_200600_302600_NS4plusIfEEEE10hipError_tPvRmT1_T2_T3_mT4_P12ihipStream_tbEUlT_E0_NS1_11comp_targetILNS1_3genE4ELNS1_11target_archE910ELNS1_3gpuE8ELNS1_3repE0EEENS1_30default_config_static_selectorELNS0_4arch9wavefront6targetE0EEEvSF_.private_seg_size, 0
	.set _ZN7rocprim17ROCPRIM_400000_NS6detail17trampoline_kernelINS0_14default_configENS1_22reduce_config_selectorIfEEZNS1_11reduce_implILb1ES3_PfS7_fN6thrust23THRUST_200600_302600_NS4plusIfEEEE10hipError_tPvRmT1_T2_T3_mT4_P12ihipStream_tbEUlT_E0_NS1_11comp_targetILNS1_3genE4ELNS1_11target_archE910ELNS1_3gpuE8ELNS1_3repE0EEENS1_30default_config_static_selectorELNS0_4arch9wavefront6targetE0EEEvSF_.uses_vcc, 0
	.set _ZN7rocprim17ROCPRIM_400000_NS6detail17trampoline_kernelINS0_14default_configENS1_22reduce_config_selectorIfEEZNS1_11reduce_implILb1ES3_PfS7_fN6thrust23THRUST_200600_302600_NS4plusIfEEEE10hipError_tPvRmT1_T2_T3_mT4_P12ihipStream_tbEUlT_E0_NS1_11comp_targetILNS1_3genE4ELNS1_11target_archE910ELNS1_3gpuE8ELNS1_3repE0EEENS1_30default_config_static_selectorELNS0_4arch9wavefront6targetE0EEEvSF_.uses_flat_scratch, 0
	.set _ZN7rocprim17ROCPRIM_400000_NS6detail17trampoline_kernelINS0_14default_configENS1_22reduce_config_selectorIfEEZNS1_11reduce_implILb1ES3_PfS7_fN6thrust23THRUST_200600_302600_NS4plusIfEEEE10hipError_tPvRmT1_T2_T3_mT4_P12ihipStream_tbEUlT_E0_NS1_11comp_targetILNS1_3genE4ELNS1_11target_archE910ELNS1_3gpuE8ELNS1_3repE0EEENS1_30default_config_static_selectorELNS0_4arch9wavefront6targetE0EEEvSF_.has_dyn_sized_stack, 0
	.set _ZN7rocprim17ROCPRIM_400000_NS6detail17trampoline_kernelINS0_14default_configENS1_22reduce_config_selectorIfEEZNS1_11reduce_implILb1ES3_PfS7_fN6thrust23THRUST_200600_302600_NS4plusIfEEEE10hipError_tPvRmT1_T2_T3_mT4_P12ihipStream_tbEUlT_E0_NS1_11comp_targetILNS1_3genE4ELNS1_11target_archE910ELNS1_3gpuE8ELNS1_3repE0EEENS1_30default_config_static_selectorELNS0_4arch9wavefront6targetE0EEEvSF_.has_recursion, 0
	.set _ZN7rocprim17ROCPRIM_400000_NS6detail17trampoline_kernelINS0_14default_configENS1_22reduce_config_selectorIfEEZNS1_11reduce_implILb1ES3_PfS7_fN6thrust23THRUST_200600_302600_NS4plusIfEEEE10hipError_tPvRmT1_T2_T3_mT4_P12ihipStream_tbEUlT_E0_NS1_11comp_targetILNS1_3genE4ELNS1_11target_archE910ELNS1_3gpuE8ELNS1_3repE0EEENS1_30default_config_static_selectorELNS0_4arch9wavefront6targetE0EEEvSF_.has_indirect_call, 0
	.section	.AMDGPU.csdata,"",@progbits
; Kernel info:
; codeLenInByte = 0
; TotalNumSgprs: 0
; NumVgprs: 0
; ScratchSize: 0
; MemoryBound: 0
; FloatMode: 240
; IeeeMode: 1
; LDSByteSize: 0 bytes/workgroup (compile time only)
; SGPRBlocks: 0
; VGPRBlocks: 0
; NumSGPRsForWavesPerEU: 1
; NumVGPRsForWavesPerEU: 1
; NamedBarCnt: 0
; Occupancy: 16
; WaveLimiterHint : 0
; COMPUTE_PGM_RSRC2:SCRATCH_EN: 0
; COMPUTE_PGM_RSRC2:USER_SGPR: 2
; COMPUTE_PGM_RSRC2:TRAP_HANDLER: 0
; COMPUTE_PGM_RSRC2:TGID_X_EN: 1
; COMPUTE_PGM_RSRC2:TGID_Y_EN: 0
; COMPUTE_PGM_RSRC2:TGID_Z_EN: 0
; COMPUTE_PGM_RSRC2:TIDIG_COMP_CNT: 0
	.section	.text._ZN7rocprim17ROCPRIM_400000_NS6detail17trampoline_kernelINS0_14default_configENS1_22reduce_config_selectorIfEEZNS1_11reduce_implILb1ES3_PfS7_fN6thrust23THRUST_200600_302600_NS4plusIfEEEE10hipError_tPvRmT1_T2_T3_mT4_P12ihipStream_tbEUlT_E0_NS1_11comp_targetILNS1_3genE3ELNS1_11target_archE908ELNS1_3gpuE7ELNS1_3repE0EEENS1_30default_config_static_selectorELNS0_4arch9wavefront6targetE0EEEvSF_,"axG",@progbits,_ZN7rocprim17ROCPRIM_400000_NS6detail17trampoline_kernelINS0_14default_configENS1_22reduce_config_selectorIfEEZNS1_11reduce_implILb1ES3_PfS7_fN6thrust23THRUST_200600_302600_NS4plusIfEEEE10hipError_tPvRmT1_T2_T3_mT4_P12ihipStream_tbEUlT_E0_NS1_11comp_targetILNS1_3genE3ELNS1_11target_archE908ELNS1_3gpuE7ELNS1_3repE0EEENS1_30default_config_static_selectorELNS0_4arch9wavefront6targetE0EEEvSF_,comdat
	.protected	_ZN7rocprim17ROCPRIM_400000_NS6detail17trampoline_kernelINS0_14default_configENS1_22reduce_config_selectorIfEEZNS1_11reduce_implILb1ES3_PfS7_fN6thrust23THRUST_200600_302600_NS4plusIfEEEE10hipError_tPvRmT1_T2_T3_mT4_P12ihipStream_tbEUlT_E0_NS1_11comp_targetILNS1_3genE3ELNS1_11target_archE908ELNS1_3gpuE7ELNS1_3repE0EEENS1_30default_config_static_selectorELNS0_4arch9wavefront6targetE0EEEvSF_ ; -- Begin function _ZN7rocprim17ROCPRIM_400000_NS6detail17trampoline_kernelINS0_14default_configENS1_22reduce_config_selectorIfEEZNS1_11reduce_implILb1ES3_PfS7_fN6thrust23THRUST_200600_302600_NS4plusIfEEEE10hipError_tPvRmT1_T2_T3_mT4_P12ihipStream_tbEUlT_E0_NS1_11comp_targetILNS1_3genE3ELNS1_11target_archE908ELNS1_3gpuE7ELNS1_3repE0EEENS1_30default_config_static_selectorELNS0_4arch9wavefront6targetE0EEEvSF_
	.globl	_ZN7rocprim17ROCPRIM_400000_NS6detail17trampoline_kernelINS0_14default_configENS1_22reduce_config_selectorIfEEZNS1_11reduce_implILb1ES3_PfS7_fN6thrust23THRUST_200600_302600_NS4plusIfEEEE10hipError_tPvRmT1_T2_T3_mT4_P12ihipStream_tbEUlT_E0_NS1_11comp_targetILNS1_3genE3ELNS1_11target_archE908ELNS1_3gpuE7ELNS1_3repE0EEENS1_30default_config_static_selectorELNS0_4arch9wavefront6targetE0EEEvSF_
	.p2align	8
	.type	_ZN7rocprim17ROCPRIM_400000_NS6detail17trampoline_kernelINS0_14default_configENS1_22reduce_config_selectorIfEEZNS1_11reduce_implILb1ES3_PfS7_fN6thrust23THRUST_200600_302600_NS4plusIfEEEE10hipError_tPvRmT1_T2_T3_mT4_P12ihipStream_tbEUlT_E0_NS1_11comp_targetILNS1_3genE3ELNS1_11target_archE908ELNS1_3gpuE7ELNS1_3repE0EEENS1_30default_config_static_selectorELNS0_4arch9wavefront6targetE0EEEvSF_,@function
_ZN7rocprim17ROCPRIM_400000_NS6detail17trampoline_kernelINS0_14default_configENS1_22reduce_config_selectorIfEEZNS1_11reduce_implILb1ES3_PfS7_fN6thrust23THRUST_200600_302600_NS4plusIfEEEE10hipError_tPvRmT1_T2_T3_mT4_P12ihipStream_tbEUlT_E0_NS1_11comp_targetILNS1_3genE3ELNS1_11target_archE908ELNS1_3gpuE7ELNS1_3repE0EEENS1_30default_config_static_selectorELNS0_4arch9wavefront6targetE0EEEvSF_: ; @_ZN7rocprim17ROCPRIM_400000_NS6detail17trampoline_kernelINS0_14default_configENS1_22reduce_config_selectorIfEEZNS1_11reduce_implILb1ES3_PfS7_fN6thrust23THRUST_200600_302600_NS4plusIfEEEE10hipError_tPvRmT1_T2_T3_mT4_P12ihipStream_tbEUlT_E0_NS1_11comp_targetILNS1_3genE3ELNS1_11target_archE908ELNS1_3gpuE7ELNS1_3repE0EEENS1_30default_config_static_selectorELNS0_4arch9wavefront6targetE0EEEvSF_
; %bb.0:
	.section	.rodata,"a",@progbits
	.p2align	6, 0x0
	.amdhsa_kernel _ZN7rocprim17ROCPRIM_400000_NS6detail17trampoline_kernelINS0_14default_configENS1_22reduce_config_selectorIfEEZNS1_11reduce_implILb1ES3_PfS7_fN6thrust23THRUST_200600_302600_NS4plusIfEEEE10hipError_tPvRmT1_T2_T3_mT4_P12ihipStream_tbEUlT_E0_NS1_11comp_targetILNS1_3genE3ELNS1_11target_archE908ELNS1_3gpuE7ELNS1_3repE0EEENS1_30default_config_static_selectorELNS0_4arch9wavefront6targetE0EEEvSF_
		.amdhsa_group_segment_fixed_size 0
		.amdhsa_private_segment_fixed_size 0
		.amdhsa_kernarg_size 56
		.amdhsa_user_sgpr_count 2
		.amdhsa_user_sgpr_dispatch_ptr 0
		.amdhsa_user_sgpr_queue_ptr 0
		.amdhsa_user_sgpr_kernarg_segment_ptr 1
		.amdhsa_user_sgpr_dispatch_id 0
		.amdhsa_user_sgpr_kernarg_preload_length 0
		.amdhsa_user_sgpr_kernarg_preload_offset 0
		.amdhsa_user_sgpr_private_segment_size 0
		.amdhsa_wavefront_size32 1
		.amdhsa_uses_dynamic_stack 0
		.amdhsa_enable_private_segment 0
		.amdhsa_system_sgpr_workgroup_id_x 1
		.amdhsa_system_sgpr_workgroup_id_y 0
		.amdhsa_system_sgpr_workgroup_id_z 0
		.amdhsa_system_sgpr_workgroup_info 0
		.amdhsa_system_vgpr_workitem_id 0
		.amdhsa_next_free_vgpr 1
		.amdhsa_next_free_sgpr 1
		.amdhsa_named_barrier_count 0
		.amdhsa_reserve_vcc 0
		.amdhsa_float_round_mode_32 0
		.amdhsa_float_round_mode_16_64 0
		.amdhsa_float_denorm_mode_32 3
		.amdhsa_float_denorm_mode_16_64 3
		.amdhsa_fp16_overflow 0
		.amdhsa_memory_ordered 1
		.amdhsa_forward_progress 1
		.amdhsa_inst_pref_size 0
		.amdhsa_round_robin_scheduling 0
		.amdhsa_exception_fp_ieee_invalid_op 0
		.amdhsa_exception_fp_denorm_src 0
		.amdhsa_exception_fp_ieee_div_zero 0
		.amdhsa_exception_fp_ieee_overflow 0
		.amdhsa_exception_fp_ieee_underflow 0
		.amdhsa_exception_fp_ieee_inexact 0
		.amdhsa_exception_int_div_zero 0
	.end_amdhsa_kernel
	.section	.text._ZN7rocprim17ROCPRIM_400000_NS6detail17trampoline_kernelINS0_14default_configENS1_22reduce_config_selectorIfEEZNS1_11reduce_implILb1ES3_PfS7_fN6thrust23THRUST_200600_302600_NS4plusIfEEEE10hipError_tPvRmT1_T2_T3_mT4_P12ihipStream_tbEUlT_E0_NS1_11comp_targetILNS1_3genE3ELNS1_11target_archE908ELNS1_3gpuE7ELNS1_3repE0EEENS1_30default_config_static_selectorELNS0_4arch9wavefront6targetE0EEEvSF_,"axG",@progbits,_ZN7rocprim17ROCPRIM_400000_NS6detail17trampoline_kernelINS0_14default_configENS1_22reduce_config_selectorIfEEZNS1_11reduce_implILb1ES3_PfS7_fN6thrust23THRUST_200600_302600_NS4plusIfEEEE10hipError_tPvRmT1_T2_T3_mT4_P12ihipStream_tbEUlT_E0_NS1_11comp_targetILNS1_3genE3ELNS1_11target_archE908ELNS1_3gpuE7ELNS1_3repE0EEENS1_30default_config_static_selectorELNS0_4arch9wavefront6targetE0EEEvSF_,comdat
.Lfunc_end3:
	.size	_ZN7rocprim17ROCPRIM_400000_NS6detail17trampoline_kernelINS0_14default_configENS1_22reduce_config_selectorIfEEZNS1_11reduce_implILb1ES3_PfS7_fN6thrust23THRUST_200600_302600_NS4plusIfEEEE10hipError_tPvRmT1_T2_T3_mT4_P12ihipStream_tbEUlT_E0_NS1_11comp_targetILNS1_3genE3ELNS1_11target_archE908ELNS1_3gpuE7ELNS1_3repE0EEENS1_30default_config_static_selectorELNS0_4arch9wavefront6targetE0EEEvSF_, .Lfunc_end3-_ZN7rocprim17ROCPRIM_400000_NS6detail17trampoline_kernelINS0_14default_configENS1_22reduce_config_selectorIfEEZNS1_11reduce_implILb1ES3_PfS7_fN6thrust23THRUST_200600_302600_NS4plusIfEEEE10hipError_tPvRmT1_T2_T3_mT4_P12ihipStream_tbEUlT_E0_NS1_11comp_targetILNS1_3genE3ELNS1_11target_archE908ELNS1_3gpuE7ELNS1_3repE0EEENS1_30default_config_static_selectorELNS0_4arch9wavefront6targetE0EEEvSF_
                                        ; -- End function
	.set _ZN7rocprim17ROCPRIM_400000_NS6detail17trampoline_kernelINS0_14default_configENS1_22reduce_config_selectorIfEEZNS1_11reduce_implILb1ES3_PfS7_fN6thrust23THRUST_200600_302600_NS4plusIfEEEE10hipError_tPvRmT1_T2_T3_mT4_P12ihipStream_tbEUlT_E0_NS1_11comp_targetILNS1_3genE3ELNS1_11target_archE908ELNS1_3gpuE7ELNS1_3repE0EEENS1_30default_config_static_selectorELNS0_4arch9wavefront6targetE0EEEvSF_.num_vgpr, 0
	.set _ZN7rocprim17ROCPRIM_400000_NS6detail17trampoline_kernelINS0_14default_configENS1_22reduce_config_selectorIfEEZNS1_11reduce_implILb1ES3_PfS7_fN6thrust23THRUST_200600_302600_NS4plusIfEEEE10hipError_tPvRmT1_T2_T3_mT4_P12ihipStream_tbEUlT_E0_NS1_11comp_targetILNS1_3genE3ELNS1_11target_archE908ELNS1_3gpuE7ELNS1_3repE0EEENS1_30default_config_static_selectorELNS0_4arch9wavefront6targetE0EEEvSF_.num_agpr, 0
	.set _ZN7rocprim17ROCPRIM_400000_NS6detail17trampoline_kernelINS0_14default_configENS1_22reduce_config_selectorIfEEZNS1_11reduce_implILb1ES3_PfS7_fN6thrust23THRUST_200600_302600_NS4plusIfEEEE10hipError_tPvRmT1_T2_T3_mT4_P12ihipStream_tbEUlT_E0_NS1_11comp_targetILNS1_3genE3ELNS1_11target_archE908ELNS1_3gpuE7ELNS1_3repE0EEENS1_30default_config_static_selectorELNS0_4arch9wavefront6targetE0EEEvSF_.numbered_sgpr, 0
	.set _ZN7rocprim17ROCPRIM_400000_NS6detail17trampoline_kernelINS0_14default_configENS1_22reduce_config_selectorIfEEZNS1_11reduce_implILb1ES3_PfS7_fN6thrust23THRUST_200600_302600_NS4plusIfEEEE10hipError_tPvRmT1_T2_T3_mT4_P12ihipStream_tbEUlT_E0_NS1_11comp_targetILNS1_3genE3ELNS1_11target_archE908ELNS1_3gpuE7ELNS1_3repE0EEENS1_30default_config_static_selectorELNS0_4arch9wavefront6targetE0EEEvSF_.num_named_barrier, 0
	.set _ZN7rocprim17ROCPRIM_400000_NS6detail17trampoline_kernelINS0_14default_configENS1_22reduce_config_selectorIfEEZNS1_11reduce_implILb1ES3_PfS7_fN6thrust23THRUST_200600_302600_NS4plusIfEEEE10hipError_tPvRmT1_T2_T3_mT4_P12ihipStream_tbEUlT_E0_NS1_11comp_targetILNS1_3genE3ELNS1_11target_archE908ELNS1_3gpuE7ELNS1_3repE0EEENS1_30default_config_static_selectorELNS0_4arch9wavefront6targetE0EEEvSF_.private_seg_size, 0
	.set _ZN7rocprim17ROCPRIM_400000_NS6detail17trampoline_kernelINS0_14default_configENS1_22reduce_config_selectorIfEEZNS1_11reduce_implILb1ES3_PfS7_fN6thrust23THRUST_200600_302600_NS4plusIfEEEE10hipError_tPvRmT1_T2_T3_mT4_P12ihipStream_tbEUlT_E0_NS1_11comp_targetILNS1_3genE3ELNS1_11target_archE908ELNS1_3gpuE7ELNS1_3repE0EEENS1_30default_config_static_selectorELNS0_4arch9wavefront6targetE0EEEvSF_.uses_vcc, 0
	.set _ZN7rocprim17ROCPRIM_400000_NS6detail17trampoline_kernelINS0_14default_configENS1_22reduce_config_selectorIfEEZNS1_11reduce_implILb1ES3_PfS7_fN6thrust23THRUST_200600_302600_NS4plusIfEEEE10hipError_tPvRmT1_T2_T3_mT4_P12ihipStream_tbEUlT_E0_NS1_11comp_targetILNS1_3genE3ELNS1_11target_archE908ELNS1_3gpuE7ELNS1_3repE0EEENS1_30default_config_static_selectorELNS0_4arch9wavefront6targetE0EEEvSF_.uses_flat_scratch, 0
	.set _ZN7rocprim17ROCPRIM_400000_NS6detail17trampoline_kernelINS0_14default_configENS1_22reduce_config_selectorIfEEZNS1_11reduce_implILb1ES3_PfS7_fN6thrust23THRUST_200600_302600_NS4plusIfEEEE10hipError_tPvRmT1_T2_T3_mT4_P12ihipStream_tbEUlT_E0_NS1_11comp_targetILNS1_3genE3ELNS1_11target_archE908ELNS1_3gpuE7ELNS1_3repE0EEENS1_30default_config_static_selectorELNS0_4arch9wavefront6targetE0EEEvSF_.has_dyn_sized_stack, 0
	.set _ZN7rocprim17ROCPRIM_400000_NS6detail17trampoline_kernelINS0_14default_configENS1_22reduce_config_selectorIfEEZNS1_11reduce_implILb1ES3_PfS7_fN6thrust23THRUST_200600_302600_NS4plusIfEEEE10hipError_tPvRmT1_T2_T3_mT4_P12ihipStream_tbEUlT_E0_NS1_11comp_targetILNS1_3genE3ELNS1_11target_archE908ELNS1_3gpuE7ELNS1_3repE0EEENS1_30default_config_static_selectorELNS0_4arch9wavefront6targetE0EEEvSF_.has_recursion, 0
	.set _ZN7rocprim17ROCPRIM_400000_NS6detail17trampoline_kernelINS0_14default_configENS1_22reduce_config_selectorIfEEZNS1_11reduce_implILb1ES3_PfS7_fN6thrust23THRUST_200600_302600_NS4plusIfEEEE10hipError_tPvRmT1_T2_T3_mT4_P12ihipStream_tbEUlT_E0_NS1_11comp_targetILNS1_3genE3ELNS1_11target_archE908ELNS1_3gpuE7ELNS1_3repE0EEENS1_30default_config_static_selectorELNS0_4arch9wavefront6targetE0EEEvSF_.has_indirect_call, 0
	.section	.AMDGPU.csdata,"",@progbits
; Kernel info:
; codeLenInByte = 0
; TotalNumSgprs: 0
; NumVgprs: 0
; ScratchSize: 0
; MemoryBound: 0
; FloatMode: 240
; IeeeMode: 1
; LDSByteSize: 0 bytes/workgroup (compile time only)
; SGPRBlocks: 0
; VGPRBlocks: 0
; NumSGPRsForWavesPerEU: 1
; NumVGPRsForWavesPerEU: 1
; NamedBarCnt: 0
; Occupancy: 16
; WaveLimiterHint : 0
; COMPUTE_PGM_RSRC2:SCRATCH_EN: 0
; COMPUTE_PGM_RSRC2:USER_SGPR: 2
; COMPUTE_PGM_RSRC2:TRAP_HANDLER: 0
; COMPUTE_PGM_RSRC2:TGID_X_EN: 1
; COMPUTE_PGM_RSRC2:TGID_Y_EN: 0
; COMPUTE_PGM_RSRC2:TGID_Z_EN: 0
; COMPUTE_PGM_RSRC2:TIDIG_COMP_CNT: 0
	.section	.text._ZN7rocprim17ROCPRIM_400000_NS6detail17trampoline_kernelINS0_14default_configENS1_22reduce_config_selectorIfEEZNS1_11reduce_implILb1ES3_PfS7_fN6thrust23THRUST_200600_302600_NS4plusIfEEEE10hipError_tPvRmT1_T2_T3_mT4_P12ihipStream_tbEUlT_E0_NS1_11comp_targetILNS1_3genE2ELNS1_11target_archE906ELNS1_3gpuE6ELNS1_3repE0EEENS1_30default_config_static_selectorELNS0_4arch9wavefront6targetE0EEEvSF_,"axG",@progbits,_ZN7rocprim17ROCPRIM_400000_NS6detail17trampoline_kernelINS0_14default_configENS1_22reduce_config_selectorIfEEZNS1_11reduce_implILb1ES3_PfS7_fN6thrust23THRUST_200600_302600_NS4plusIfEEEE10hipError_tPvRmT1_T2_T3_mT4_P12ihipStream_tbEUlT_E0_NS1_11comp_targetILNS1_3genE2ELNS1_11target_archE906ELNS1_3gpuE6ELNS1_3repE0EEENS1_30default_config_static_selectorELNS0_4arch9wavefront6targetE0EEEvSF_,comdat
	.protected	_ZN7rocprim17ROCPRIM_400000_NS6detail17trampoline_kernelINS0_14default_configENS1_22reduce_config_selectorIfEEZNS1_11reduce_implILb1ES3_PfS7_fN6thrust23THRUST_200600_302600_NS4plusIfEEEE10hipError_tPvRmT1_T2_T3_mT4_P12ihipStream_tbEUlT_E0_NS1_11comp_targetILNS1_3genE2ELNS1_11target_archE906ELNS1_3gpuE6ELNS1_3repE0EEENS1_30default_config_static_selectorELNS0_4arch9wavefront6targetE0EEEvSF_ ; -- Begin function _ZN7rocprim17ROCPRIM_400000_NS6detail17trampoline_kernelINS0_14default_configENS1_22reduce_config_selectorIfEEZNS1_11reduce_implILb1ES3_PfS7_fN6thrust23THRUST_200600_302600_NS4plusIfEEEE10hipError_tPvRmT1_T2_T3_mT4_P12ihipStream_tbEUlT_E0_NS1_11comp_targetILNS1_3genE2ELNS1_11target_archE906ELNS1_3gpuE6ELNS1_3repE0EEENS1_30default_config_static_selectorELNS0_4arch9wavefront6targetE0EEEvSF_
	.globl	_ZN7rocprim17ROCPRIM_400000_NS6detail17trampoline_kernelINS0_14default_configENS1_22reduce_config_selectorIfEEZNS1_11reduce_implILb1ES3_PfS7_fN6thrust23THRUST_200600_302600_NS4plusIfEEEE10hipError_tPvRmT1_T2_T3_mT4_P12ihipStream_tbEUlT_E0_NS1_11comp_targetILNS1_3genE2ELNS1_11target_archE906ELNS1_3gpuE6ELNS1_3repE0EEENS1_30default_config_static_selectorELNS0_4arch9wavefront6targetE0EEEvSF_
	.p2align	8
	.type	_ZN7rocprim17ROCPRIM_400000_NS6detail17trampoline_kernelINS0_14default_configENS1_22reduce_config_selectorIfEEZNS1_11reduce_implILb1ES3_PfS7_fN6thrust23THRUST_200600_302600_NS4plusIfEEEE10hipError_tPvRmT1_T2_T3_mT4_P12ihipStream_tbEUlT_E0_NS1_11comp_targetILNS1_3genE2ELNS1_11target_archE906ELNS1_3gpuE6ELNS1_3repE0EEENS1_30default_config_static_selectorELNS0_4arch9wavefront6targetE0EEEvSF_,@function
_ZN7rocprim17ROCPRIM_400000_NS6detail17trampoline_kernelINS0_14default_configENS1_22reduce_config_selectorIfEEZNS1_11reduce_implILb1ES3_PfS7_fN6thrust23THRUST_200600_302600_NS4plusIfEEEE10hipError_tPvRmT1_T2_T3_mT4_P12ihipStream_tbEUlT_E0_NS1_11comp_targetILNS1_3genE2ELNS1_11target_archE906ELNS1_3gpuE6ELNS1_3repE0EEENS1_30default_config_static_selectorELNS0_4arch9wavefront6targetE0EEEvSF_: ; @_ZN7rocprim17ROCPRIM_400000_NS6detail17trampoline_kernelINS0_14default_configENS1_22reduce_config_selectorIfEEZNS1_11reduce_implILb1ES3_PfS7_fN6thrust23THRUST_200600_302600_NS4plusIfEEEE10hipError_tPvRmT1_T2_T3_mT4_P12ihipStream_tbEUlT_E0_NS1_11comp_targetILNS1_3genE2ELNS1_11target_archE906ELNS1_3gpuE6ELNS1_3repE0EEENS1_30default_config_static_selectorELNS0_4arch9wavefront6targetE0EEEvSF_
; %bb.0:
	.section	.rodata,"a",@progbits
	.p2align	6, 0x0
	.amdhsa_kernel _ZN7rocprim17ROCPRIM_400000_NS6detail17trampoline_kernelINS0_14default_configENS1_22reduce_config_selectorIfEEZNS1_11reduce_implILb1ES3_PfS7_fN6thrust23THRUST_200600_302600_NS4plusIfEEEE10hipError_tPvRmT1_T2_T3_mT4_P12ihipStream_tbEUlT_E0_NS1_11comp_targetILNS1_3genE2ELNS1_11target_archE906ELNS1_3gpuE6ELNS1_3repE0EEENS1_30default_config_static_selectorELNS0_4arch9wavefront6targetE0EEEvSF_
		.amdhsa_group_segment_fixed_size 0
		.amdhsa_private_segment_fixed_size 0
		.amdhsa_kernarg_size 56
		.amdhsa_user_sgpr_count 2
		.amdhsa_user_sgpr_dispatch_ptr 0
		.amdhsa_user_sgpr_queue_ptr 0
		.amdhsa_user_sgpr_kernarg_segment_ptr 1
		.amdhsa_user_sgpr_dispatch_id 0
		.amdhsa_user_sgpr_kernarg_preload_length 0
		.amdhsa_user_sgpr_kernarg_preload_offset 0
		.amdhsa_user_sgpr_private_segment_size 0
		.amdhsa_wavefront_size32 1
		.amdhsa_uses_dynamic_stack 0
		.amdhsa_enable_private_segment 0
		.amdhsa_system_sgpr_workgroup_id_x 1
		.amdhsa_system_sgpr_workgroup_id_y 0
		.amdhsa_system_sgpr_workgroup_id_z 0
		.amdhsa_system_sgpr_workgroup_info 0
		.amdhsa_system_vgpr_workitem_id 0
		.amdhsa_next_free_vgpr 1
		.amdhsa_next_free_sgpr 1
		.amdhsa_named_barrier_count 0
		.amdhsa_reserve_vcc 0
		.amdhsa_float_round_mode_32 0
		.amdhsa_float_round_mode_16_64 0
		.amdhsa_float_denorm_mode_32 3
		.amdhsa_float_denorm_mode_16_64 3
		.amdhsa_fp16_overflow 0
		.amdhsa_memory_ordered 1
		.amdhsa_forward_progress 1
		.amdhsa_inst_pref_size 0
		.amdhsa_round_robin_scheduling 0
		.amdhsa_exception_fp_ieee_invalid_op 0
		.amdhsa_exception_fp_denorm_src 0
		.amdhsa_exception_fp_ieee_div_zero 0
		.amdhsa_exception_fp_ieee_overflow 0
		.amdhsa_exception_fp_ieee_underflow 0
		.amdhsa_exception_fp_ieee_inexact 0
		.amdhsa_exception_int_div_zero 0
	.end_amdhsa_kernel
	.section	.text._ZN7rocprim17ROCPRIM_400000_NS6detail17trampoline_kernelINS0_14default_configENS1_22reduce_config_selectorIfEEZNS1_11reduce_implILb1ES3_PfS7_fN6thrust23THRUST_200600_302600_NS4plusIfEEEE10hipError_tPvRmT1_T2_T3_mT4_P12ihipStream_tbEUlT_E0_NS1_11comp_targetILNS1_3genE2ELNS1_11target_archE906ELNS1_3gpuE6ELNS1_3repE0EEENS1_30default_config_static_selectorELNS0_4arch9wavefront6targetE0EEEvSF_,"axG",@progbits,_ZN7rocprim17ROCPRIM_400000_NS6detail17trampoline_kernelINS0_14default_configENS1_22reduce_config_selectorIfEEZNS1_11reduce_implILb1ES3_PfS7_fN6thrust23THRUST_200600_302600_NS4plusIfEEEE10hipError_tPvRmT1_T2_T3_mT4_P12ihipStream_tbEUlT_E0_NS1_11comp_targetILNS1_3genE2ELNS1_11target_archE906ELNS1_3gpuE6ELNS1_3repE0EEENS1_30default_config_static_selectorELNS0_4arch9wavefront6targetE0EEEvSF_,comdat
.Lfunc_end4:
	.size	_ZN7rocprim17ROCPRIM_400000_NS6detail17trampoline_kernelINS0_14default_configENS1_22reduce_config_selectorIfEEZNS1_11reduce_implILb1ES3_PfS7_fN6thrust23THRUST_200600_302600_NS4plusIfEEEE10hipError_tPvRmT1_T2_T3_mT4_P12ihipStream_tbEUlT_E0_NS1_11comp_targetILNS1_3genE2ELNS1_11target_archE906ELNS1_3gpuE6ELNS1_3repE0EEENS1_30default_config_static_selectorELNS0_4arch9wavefront6targetE0EEEvSF_, .Lfunc_end4-_ZN7rocprim17ROCPRIM_400000_NS6detail17trampoline_kernelINS0_14default_configENS1_22reduce_config_selectorIfEEZNS1_11reduce_implILb1ES3_PfS7_fN6thrust23THRUST_200600_302600_NS4plusIfEEEE10hipError_tPvRmT1_T2_T3_mT4_P12ihipStream_tbEUlT_E0_NS1_11comp_targetILNS1_3genE2ELNS1_11target_archE906ELNS1_3gpuE6ELNS1_3repE0EEENS1_30default_config_static_selectorELNS0_4arch9wavefront6targetE0EEEvSF_
                                        ; -- End function
	.set _ZN7rocprim17ROCPRIM_400000_NS6detail17trampoline_kernelINS0_14default_configENS1_22reduce_config_selectorIfEEZNS1_11reduce_implILb1ES3_PfS7_fN6thrust23THRUST_200600_302600_NS4plusIfEEEE10hipError_tPvRmT1_T2_T3_mT4_P12ihipStream_tbEUlT_E0_NS1_11comp_targetILNS1_3genE2ELNS1_11target_archE906ELNS1_3gpuE6ELNS1_3repE0EEENS1_30default_config_static_selectorELNS0_4arch9wavefront6targetE0EEEvSF_.num_vgpr, 0
	.set _ZN7rocprim17ROCPRIM_400000_NS6detail17trampoline_kernelINS0_14default_configENS1_22reduce_config_selectorIfEEZNS1_11reduce_implILb1ES3_PfS7_fN6thrust23THRUST_200600_302600_NS4plusIfEEEE10hipError_tPvRmT1_T2_T3_mT4_P12ihipStream_tbEUlT_E0_NS1_11comp_targetILNS1_3genE2ELNS1_11target_archE906ELNS1_3gpuE6ELNS1_3repE0EEENS1_30default_config_static_selectorELNS0_4arch9wavefront6targetE0EEEvSF_.num_agpr, 0
	.set _ZN7rocprim17ROCPRIM_400000_NS6detail17trampoline_kernelINS0_14default_configENS1_22reduce_config_selectorIfEEZNS1_11reduce_implILb1ES3_PfS7_fN6thrust23THRUST_200600_302600_NS4plusIfEEEE10hipError_tPvRmT1_T2_T3_mT4_P12ihipStream_tbEUlT_E0_NS1_11comp_targetILNS1_3genE2ELNS1_11target_archE906ELNS1_3gpuE6ELNS1_3repE0EEENS1_30default_config_static_selectorELNS0_4arch9wavefront6targetE0EEEvSF_.numbered_sgpr, 0
	.set _ZN7rocprim17ROCPRIM_400000_NS6detail17trampoline_kernelINS0_14default_configENS1_22reduce_config_selectorIfEEZNS1_11reduce_implILb1ES3_PfS7_fN6thrust23THRUST_200600_302600_NS4plusIfEEEE10hipError_tPvRmT1_T2_T3_mT4_P12ihipStream_tbEUlT_E0_NS1_11comp_targetILNS1_3genE2ELNS1_11target_archE906ELNS1_3gpuE6ELNS1_3repE0EEENS1_30default_config_static_selectorELNS0_4arch9wavefront6targetE0EEEvSF_.num_named_barrier, 0
	.set _ZN7rocprim17ROCPRIM_400000_NS6detail17trampoline_kernelINS0_14default_configENS1_22reduce_config_selectorIfEEZNS1_11reduce_implILb1ES3_PfS7_fN6thrust23THRUST_200600_302600_NS4plusIfEEEE10hipError_tPvRmT1_T2_T3_mT4_P12ihipStream_tbEUlT_E0_NS1_11comp_targetILNS1_3genE2ELNS1_11target_archE906ELNS1_3gpuE6ELNS1_3repE0EEENS1_30default_config_static_selectorELNS0_4arch9wavefront6targetE0EEEvSF_.private_seg_size, 0
	.set _ZN7rocprim17ROCPRIM_400000_NS6detail17trampoline_kernelINS0_14default_configENS1_22reduce_config_selectorIfEEZNS1_11reduce_implILb1ES3_PfS7_fN6thrust23THRUST_200600_302600_NS4plusIfEEEE10hipError_tPvRmT1_T2_T3_mT4_P12ihipStream_tbEUlT_E0_NS1_11comp_targetILNS1_3genE2ELNS1_11target_archE906ELNS1_3gpuE6ELNS1_3repE0EEENS1_30default_config_static_selectorELNS0_4arch9wavefront6targetE0EEEvSF_.uses_vcc, 0
	.set _ZN7rocprim17ROCPRIM_400000_NS6detail17trampoline_kernelINS0_14default_configENS1_22reduce_config_selectorIfEEZNS1_11reduce_implILb1ES3_PfS7_fN6thrust23THRUST_200600_302600_NS4plusIfEEEE10hipError_tPvRmT1_T2_T3_mT4_P12ihipStream_tbEUlT_E0_NS1_11comp_targetILNS1_3genE2ELNS1_11target_archE906ELNS1_3gpuE6ELNS1_3repE0EEENS1_30default_config_static_selectorELNS0_4arch9wavefront6targetE0EEEvSF_.uses_flat_scratch, 0
	.set _ZN7rocprim17ROCPRIM_400000_NS6detail17trampoline_kernelINS0_14default_configENS1_22reduce_config_selectorIfEEZNS1_11reduce_implILb1ES3_PfS7_fN6thrust23THRUST_200600_302600_NS4plusIfEEEE10hipError_tPvRmT1_T2_T3_mT4_P12ihipStream_tbEUlT_E0_NS1_11comp_targetILNS1_3genE2ELNS1_11target_archE906ELNS1_3gpuE6ELNS1_3repE0EEENS1_30default_config_static_selectorELNS0_4arch9wavefront6targetE0EEEvSF_.has_dyn_sized_stack, 0
	.set _ZN7rocprim17ROCPRIM_400000_NS6detail17trampoline_kernelINS0_14default_configENS1_22reduce_config_selectorIfEEZNS1_11reduce_implILb1ES3_PfS7_fN6thrust23THRUST_200600_302600_NS4plusIfEEEE10hipError_tPvRmT1_T2_T3_mT4_P12ihipStream_tbEUlT_E0_NS1_11comp_targetILNS1_3genE2ELNS1_11target_archE906ELNS1_3gpuE6ELNS1_3repE0EEENS1_30default_config_static_selectorELNS0_4arch9wavefront6targetE0EEEvSF_.has_recursion, 0
	.set _ZN7rocprim17ROCPRIM_400000_NS6detail17trampoline_kernelINS0_14default_configENS1_22reduce_config_selectorIfEEZNS1_11reduce_implILb1ES3_PfS7_fN6thrust23THRUST_200600_302600_NS4plusIfEEEE10hipError_tPvRmT1_T2_T3_mT4_P12ihipStream_tbEUlT_E0_NS1_11comp_targetILNS1_3genE2ELNS1_11target_archE906ELNS1_3gpuE6ELNS1_3repE0EEENS1_30default_config_static_selectorELNS0_4arch9wavefront6targetE0EEEvSF_.has_indirect_call, 0
	.section	.AMDGPU.csdata,"",@progbits
; Kernel info:
; codeLenInByte = 0
; TotalNumSgprs: 0
; NumVgprs: 0
; ScratchSize: 0
; MemoryBound: 0
; FloatMode: 240
; IeeeMode: 1
; LDSByteSize: 0 bytes/workgroup (compile time only)
; SGPRBlocks: 0
; VGPRBlocks: 0
; NumSGPRsForWavesPerEU: 1
; NumVGPRsForWavesPerEU: 1
; NamedBarCnt: 0
; Occupancy: 16
; WaveLimiterHint : 0
; COMPUTE_PGM_RSRC2:SCRATCH_EN: 0
; COMPUTE_PGM_RSRC2:USER_SGPR: 2
; COMPUTE_PGM_RSRC2:TRAP_HANDLER: 0
; COMPUTE_PGM_RSRC2:TGID_X_EN: 1
; COMPUTE_PGM_RSRC2:TGID_Y_EN: 0
; COMPUTE_PGM_RSRC2:TGID_Z_EN: 0
; COMPUTE_PGM_RSRC2:TIDIG_COMP_CNT: 0
	.section	.text._ZN7rocprim17ROCPRIM_400000_NS6detail17trampoline_kernelINS0_14default_configENS1_22reduce_config_selectorIfEEZNS1_11reduce_implILb1ES3_PfS7_fN6thrust23THRUST_200600_302600_NS4plusIfEEEE10hipError_tPvRmT1_T2_T3_mT4_P12ihipStream_tbEUlT_E0_NS1_11comp_targetILNS1_3genE10ELNS1_11target_archE1201ELNS1_3gpuE5ELNS1_3repE0EEENS1_30default_config_static_selectorELNS0_4arch9wavefront6targetE0EEEvSF_,"axG",@progbits,_ZN7rocprim17ROCPRIM_400000_NS6detail17trampoline_kernelINS0_14default_configENS1_22reduce_config_selectorIfEEZNS1_11reduce_implILb1ES3_PfS7_fN6thrust23THRUST_200600_302600_NS4plusIfEEEE10hipError_tPvRmT1_T2_T3_mT4_P12ihipStream_tbEUlT_E0_NS1_11comp_targetILNS1_3genE10ELNS1_11target_archE1201ELNS1_3gpuE5ELNS1_3repE0EEENS1_30default_config_static_selectorELNS0_4arch9wavefront6targetE0EEEvSF_,comdat
	.protected	_ZN7rocprim17ROCPRIM_400000_NS6detail17trampoline_kernelINS0_14default_configENS1_22reduce_config_selectorIfEEZNS1_11reduce_implILb1ES3_PfS7_fN6thrust23THRUST_200600_302600_NS4plusIfEEEE10hipError_tPvRmT1_T2_T3_mT4_P12ihipStream_tbEUlT_E0_NS1_11comp_targetILNS1_3genE10ELNS1_11target_archE1201ELNS1_3gpuE5ELNS1_3repE0EEENS1_30default_config_static_selectorELNS0_4arch9wavefront6targetE0EEEvSF_ ; -- Begin function _ZN7rocprim17ROCPRIM_400000_NS6detail17trampoline_kernelINS0_14default_configENS1_22reduce_config_selectorIfEEZNS1_11reduce_implILb1ES3_PfS7_fN6thrust23THRUST_200600_302600_NS4plusIfEEEE10hipError_tPvRmT1_T2_T3_mT4_P12ihipStream_tbEUlT_E0_NS1_11comp_targetILNS1_3genE10ELNS1_11target_archE1201ELNS1_3gpuE5ELNS1_3repE0EEENS1_30default_config_static_selectorELNS0_4arch9wavefront6targetE0EEEvSF_
	.globl	_ZN7rocprim17ROCPRIM_400000_NS6detail17trampoline_kernelINS0_14default_configENS1_22reduce_config_selectorIfEEZNS1_11reduce_implILb1ES3_PfS7_fN6thrust23THRUST_200600_302600_NS4plusIfEEEE10hipError_tPvRmT1_T2_T3_mT4_P12ihipStream_tbEUlT_E0_NS1_11comp_targetILNS1_3genE10ELNS1_11target_archE1201ELNS1_3gpuE5ELNS1_3repE0EEENS1_30default_config_static_selectorELNS0_4arch9wavefront6targetE0EEEvSF_
	.p2align	8
	.type	_ZN7rocprim17ROCPRIM_400000_NS6detail17trampoline_kernelINS0_14default_configENS1_22reduce_config_selectorIfEEZNS1_11reduce_implILb1ES3_PfS7_fN6thrust23THRUST_200600_302600_NS4plusIfEEEE10hipError_tPvRmT1_T2_T3_mT4_P12ihipStream_tbEUlT_E0_NS1_11comp_targetILNS1_3genE10ELNS1_11target_archE1201ELNS1_3gpuE5ELNS1_3repE0EEENS1_30default_config_static_selectorELNS0_4arch9wavefront6targetE0EEEvSF_,@function
_ZN7rocprim17ROCPRIM_400000_NS6detail17trampoline_kernelINS0_14default_configENS1_22reduce_config_selectorIfEEZNS1_11reduce_implILb1ES3_PfS7_fN6thrust23THRUST_200600_302600_NS4plusIfEEEE10hipError_tPvRmT1_T2_T3_mT4_P12ihipStream_tbEUlT_E0_NS1_11comp_targetILNS1_3genE10ELNS1_11target_archE1201ELNS1_3gpuE5ELNS1_3repE0EEENS1_30default_config_static_selectorELNS0_4arch9wavefront6targetE0EEEvSF_: ; @_ZN7rocprim17ROCPRIM_400000_NS6detail17trampoline_kernelINS0_14default_configENS1_22reduce_config_selectorIfEEZNS1_11reduce_implILb1ES3_PfS7_fN6thrust23THRUST_200600_302600_NS4plusIfEEEE10hipError_tPvRmT1_T2_T3_mT4_P12ihipStream_tbEUlT_E0_NS1_11comp_targetILNS1_3genE10ELNS1_11target_archE1201ELNS1_3gpuE5ELNS1_3repE0EEENS1_30default_config_static_selectorELNS0_4arch9wavefront6targetE0EEEvSF_
; %bb.0:
	.section	.rodata,"a",@progbits
	.p2align	6, 0x0
	.amdhsa_kernel _ZN7rocprim17ROCPRIM_400000_NS6detail17trampoline_kernelINS0_14default_configENS1_22reduce_config_selectorIfEEZNS1_11reduce_implILb1ES3_PfS7_fN6thrust23THRUST_200600_302600_NS4plusIfEEEE10hipError_tPvRmT1_T2_T3_mT4_P12ihipStream_tbEUlT_E0_NS1_11comp_targetILNS1_3genE10ELNS1_11target_archE1201ELNS1_3gpuE5ELNS1_3repE0EEENS1_30default_config_static_selectorELNS0_4arch9wavefront6targetE0EEEvSF_
		.amdhsa_group_segment_fixed_size 0
		.amdhsa_private_segment_fixed_size 0
		.amdhsa_kernarg_size 56
		.amdhsa_user_sgpr_count 2
		.amdhsa_user_sgpr_dispatch_ptr 0
		.amdhsa_user_sgpr_queue_ptr 0
		.amdhsa_user_sgpr_kernarg_segment_ptr 1
		.amdhsa_user_sgpr_dispatch_id 0
		.amdhsa_user_sgpr_kernarg_preload_length 0
		.amdhsa_user_sgpr_kernarg_preload_offset 0
		.amdhsa_user_sgpr_private_segment_size 0
		.amdhsa_wavefront_size32 1
		.amdhsa_uses_dynamic_stack 0
		.amdhsa_enable_private_segment 0
		.amdhsa_system_sgpr_workgroup_id_x 1
		.amdhsa_system_sgpr_workgroup_id_y 0
		.amdhsa_system_sgpr_workgroup_id_z 0
		.amdhsa_system_sgpr_workgroup_info 0
		.amdhsa_system_vgpr_workitem_id 0
		.amdhsa_next_free_vgpr 1
		.amdhsa_next_free_sgpr 1
		.amdhsa_named_barrier_count 0
		.amdhsa_reserve_vcc 0
		.amdhsa_float_round_mode_32 0
		.amdhsa_float_round_mode_16_64 0
		.amdhsa_float_denorm_mode_32 3
		.amdhsa_float_denorm_mode_16_64 3
		.amdhsa_fp16_overflow 0
		.amdhsa_memory_ordered 1
		.amdhsa_forward_progress 1
		.amdhsa_inst_pref_size 0
		.amdhsa_round_robin_scheduling 0
		.amdhsa_exception_fp_ieee_invalid_op 0
		.amdhsa_exception_fp_denorm_src 0
		.amdhsa_exception_fp_ieee_div_zero 0
		.amdhsa_exception_fp_ieee_overflow 0
		.amdhsa_exception_fp_ieee_underflow 0
		.amdhsa_exception_fp_ieee_inexact 0
		.amdhsa_exception_int_div_zero 0
	.end_amdhsa_kernel
	.section	.text._ZN7rocprim17ROCPRIM_400000_NS6detail17trampoline_kernelINS0_14default_configENS1_22reduce_config_selectorIfEEZNS1_11reduce_implILb1ES3_PfS7_fN6thrust23THRUST_200600_302600_NS4plusIfEEEE10hipError_tPvRmT1_T2_T3_mT4_P12ihipStream_tbEUlT_E0_NS1_11comp_targetILNS1_3genE10ELNS1_11target_archE1201ELNS1_3gpuE5ELNS1_3repE0EEENS1_30default_config_static_selectorELNS0_4arch9wavefront6targetE0EEEvSF_,"axG",@progbits,_ZN7rocprim17ROCPRIM_400000_NS6detail17trampoline_kernelINS0_14default_configENS1_22reduce_config_selectorIfEEZNS1_11reduce_implILb1ES3_PfS7_fN6thrust23THRUST_200600_302600_NS4plusIfEEEE10hipError_tPvRmT1_T2_T3_mT4_P12ihipStream_tbEUlT_E0_NS1_11comp_targetILNS1_3genE10ELNS1_11target_archE1201ELNS1_3gpuE5ELNS1_3repE0EEENS1_30default_config_static_selectorELNS0_4arch9wavefront6targetE0EEEvSF_,comdat
.Lfunc_end5:
	.size	_ZN7rocprim17ROCPRIM_400000_NS6detail17trampoline_kernelINS0_14default_configENS1_22reduce_config_selectorIfEEZNS1_11reduce_implILb1ES3_PfS7_fN6thrust23THRUST_200600_302600_NS4plusIfEEEE10hipError_tPvRmT1_T2_T3_mT4_P12ihipStream_tbEUlT_E0_NS1_11comp_targetILNS1_3genE10ELNS1_11target_archE1201ELNS1_3gpuE5ELNS1_3repE0EEENS1_30default_config_static_selectorELNS0_4arch9wavefront6targetE0EEEvSF_, .Lfunc_end5-_ZN7rocprim17ROCPRIM_400000_NS6detail17trampoline_kernelINS0_14default_configENS1_22reduce_config_selectorIfEEZNS1_11reduce_implILb1ES3_PfS7_fN6thrust23THRUST_200600_302600_NS4plusIfEEEE10hipError_tPvRmT1_T2_T3_mT4_P12ihipStream_tbEUlT_E0_NS1_11comp_targetILNS1_3genE10ELNS1_11target_archE1201ELNS1_3gpuE5ELNS1_3repE0EEENS1_30default_config_static_selectorELNS0_4arch9wavefront6targetE0EEEvSF_
                                        ; -- End function
	.set _ZN7rocprim17ROCPRIM_400000_NS6detail17trampoline_kernelINS0_14default_configENS1_22reduce_config_selectorIfEEZNS1_11reduce_implILb1ES3_PfS7_fN6thrust23THRUST_200600_302600_NS4plusIfEEEE10hipError_tPvRmT1_T2_T3_mT4_P12ihipStream_tbEUlT_E0_NS1_11comp_targetILNS1_3genE10ELNS1_11target_archE1201ELNS1_3gpuE5ELNS1_3repE0EEENS1_30default_config_static_selectorELNS0_4arch9wavefront6targetE0EEEvSF_.num_vgpr, 0
	.set _ZN7rocprim17ROCPRIM_400000_NS6detail17trampoline_kernelINS0_14default_configENS1_22reduce_config_selectorIfEEZNS1_11reduce_implILb1ES3_PfS7_fN6thrust23THRUST_200600_302600_NS4plusIfEEEE10hipError_tPvRmT1_T2_T3_mT4_P12ihipStream_tbEUlT_E0_NS1_11comp_targetILNS1_3genE10ELNS1_11target_archE1201ELNS1_3gpuE5ELNS1_3repE0EEENS1_30default_config_static_selectorELNS0_4arch9wavefront6targetE0EEEvSF_.num_agpr, 0
	.set _ZN7rocprim17ROCPRIM_400000_NS6detail17trampoline_kernelINS0_14default_configENS1_22reduce_config_selectorIfEEZNS1_11reduce_implILb1ES3_PfS7_fN6thrust23THRUST_200600_302600_NS4plusIfEEEE10hipError_tPvRmT1_T2_T3_mT4_P12ihipStream_tbEUlT_E0_NS1_11comp_targetILNS1_3genE10ELNS1_11target_archE1201ELNS1_3gpuE5ELNS1_3repE0EEENS1_30default_config_static_selectorELNS0_4arch9wavefront6targetE0EEEvSF_.numbered_sgpr, 0
	.set _ZN7rocprim17ROCPRIM_400000_NS6detail17trampoline_kernelINS0_14default_configENS1_22reduce_config_selectorIfEEZNS1_11reduce_implILb1ES3_PfS7_fN6thrust23THRUST_200600_302600_NS4plusIfEEEE10hipError_tPvRmT1_T2_T3_mT4_P12ihipStream_tbEUlT_E0_NS1_11comp_targetILNS1_3genE10ELNS1_11target_archE1201ELNS1_3gpuE5ELNS1_3repE0EEENS1_30default_config_static_selectorELNS0_4arch9wavefront6targetE0EEEvSF_.num_named_barrier, 0
	.set _ZN7rocprim17ROCPRIM_400000_NS6detail17trampoline_kernelINS0_14default_configENS1_22reduce_config_selectorIfEEZNS1_11reduce_implILb1ES3_PfS7_fN6thrust23THRUST_200600_302600_NS4plusIfEEEE10hipError_tPvRmT1_T2_T3_mT4_P12ihipStream_tbEUlT_E0_NS1_11comp_targetILNS1_3genE10ELNS1_11target_archE1201ELNS1_3gpuE5ELNS1_3repE0EEENS1_30default_config_static_selectorELNS0_4arch9wavefront6targetE0EEEvSF_.private_seg_size, 0
	.set _ZN7rocprim17ROCPRIM_400000_NS6detail17trampoline_kernelINS0_14default_configENS1_22reduce_config_selectorIfEEZNS1_11reduce_implILb1ES3_PfS7_fN6thrust23THRUST_200600_302600_NS4plusIfEEEE10hipError_tPvRmT1_T2_T3_mT4_P12ihipStream_tbEUlT_E0_NS1_11comp_targetILNS1_3genE10ELNS1_11target_archE1201ELNS1_3gpuE5ELNS1_3repE0EEENS1_30default_config_static_selectorELNS0_4arch9wavefront6targetE0EEEvSF_.uses_vcc, 0
	.set _ZN7rocprim17ROCPRIM_400000_NS6detail17trampoline_kernelINS0_14default_configENS1_22reduce_config_selectorIfEEZNS1_11reduce_implILb1ES3_PfS7_fN6thrust23THRUST_200600_302600_NS4plusIfEEEE10hipError_tPvRmT1_T2_T3_mT4_P12ihipStream_tbEUlT_E0_NS1_11comp_targetILNS1_3genE10ELNS1_11target_archE1201ELNS1_3gpuE5ELNS1_3repE0EEENS1_30default_config_static_selectorELNS0_4arch9wavefront6targetE0EEEvSF_.uses_flat_scratch, 0
	.set _ZN7rocprim17ROCPRIM_400000_NS6detail17trampoline_kernelINS0_14default_configENS1_22reduce_config_selectorIfEEZNS1_11reduce_implILb1ES3_PfS7_fN6thrust23THRUST_200600_302600_NS4plusIfEEEE10hipError_tPvRmT1_T2_T3_mT4_P12ihipStream_tbEUlT_E0_NS1_11comp_targetILNS1_3genE10ELNS1_11target_archE1201ELNS1_3gpuE5ELNS1_3repE0EEENS1_30default_config_static_selectorELNS0_4arch9wavefront6targetE0EEEvSF_.has_dyn_sized_stack, 0
	.set _ZN7rocprim17ROCPRIM_400000_NS6detail17trampoline_kernelINS0_14default_configENS1_22reduce_config_selectorIfEEZNS1_11reduce_implILb1ES3_PfS7_fN6thrust23THRUST_200600_302600_NS4plusIfEEEE10hipError_tPvRmT1_T2_T3_mT4_P12ihipStream_tbEUlT_E0_NS1_11comp_targetILNS1_3genE10ELNS1_11target_archE1201ELNS1_3gpuE5ELNS1_3repE0EEENS1_30default_config_static_selectorELNS0_4arch9wavefront6targetE0EEEvSF_.has_recursion, 0
	.set _ZN7rocprim17ROCPRIM_400000_NS6detail17trampoline_kernelINS0_14default_configENS1_22reduce_config_selectorIfEEZNS1_11reduce_implILb1ES3_PfS7_fN6thrust23THRUST_200600_302600_NS4plusIfEEEE10hipError_tPvRmT1_T2_T3_mT4_P12ihipStream_tbEUlT_E0_NS1_11comp_targetILNS1_3genE10ELNS1_11target_archE1201ELNS1_3gpuE5ELNS1_3repE0EEENS1_30default_config_static_selectorELNS0_4arch9wavefront6targetE0EEEvSF_.has_indirect_call, 0
	.section	.AMDGPU.csdata,"",@progbits
; Kernel info:
; codeLenInByte = 0
; TotalNumSgprs: 0
; NumVgprs: 0
; ScratchSize: 0
; MemoryBound: 0
; FloatMode: 240
; IeeeMode: 1
; LDSByteSize: 0 bytes/workgroup (compile time only)
; SGPRBlocks: 0
; VGPRBlocks: 0
; NumSGPRsForWavesPerEU: 1
; NumVGPRsForWavesPerEU: 1
; NamedBarCnt: 0
; Occupancy: 16
; WaveLimiterHint : 0
; COMPUTE_PGM_RSRC2:SCRATCH_EN: 0
; COMPUTE_PGM_RSRC2:USER_SGPR: 2
; COMPUTE_PGM_RSRC2:TRAP_HANDLER: 0
; COMPUTE_PGM_RSRC2:TGID_X_EN: 1
; COMPUTE_PGM_RSRC2:TGID_Y_EN: 0
; COMPUTE_PGM_RSRC2:TGID_Z_EN: 0
; COMPUTE_PGM_RSRC2:TIDIG_COMP_CNT: 0
	.section	.text._ZN7rocprim17ROCPRIM_400000_NS6detail17trampoline_kernelINS0_14default_configENS1_22reduce_config_selectorIfEEZNS1_11reduce_implILb1ES3_PfS7_fN6thrust23THRUST_200600_302600_NS4plusIfEEEE10hipError_tPvRmT1_T2_T3_mT4_P12ihipStream_tbEUlT_E0_NS1_11comp_targetILNS1_3genE10ELNS1_11target_archE1200ELNS1_3gpuE4ELNS1_3repE0EEENS1_30default_config_static_selectorELNS0_4arch9wavefront6targetE0EEEvSF_,"axG",@progbits,_ZN7rocprim17ROCPRIM_400000_NS6detail17trampoline_kernelINS0_14default_configENS1_22reduce_config_selectorIfEEZNS1_11reduce_implILb1ES3_PfS7_fN6thrust23THRUST_200600_302600_NS4plusIfEEEE10hipError_tPvRmT1_T2_T3_mT4_P12ihipStream_tbEUlT_E0_NS1_11comp_targetILNS1_3genE10ELNS1_11target_archE1200ELNS1_3gpuE4ELNS1_3repE0EEENS1_30default_config_static_selectorELNS0_4arch9wavefront6targetE0EEEvSF_,comdat
	.protected	_ZN7rocprim17ROCPRIM_400000_NS6detail17trampoline_kernelINS0_14default_configENS1_22reduce_config_selectorIfEEZNS1_11reduce_implILb1ES3_PfS7_fN6thrust23THRUST_200600_302600_NS4plusIfEEEE10hipError_tPvRmT1_T2_T3_mT4_P12ihipStream_tbEUlT_E0_NS1_11comp_targetILNS1_3genE10ELNS1_11target_archE1200ELNS1_3gpuE4ELNS1_3repE0EEENS1_30default_config_static_selectorELNS0_4arch9wavefront6targetE0EEEvSF_ ; -- Begin function _ZN7rocprim17ROCPRIM_400000_NS6detail17trampoline_kernelINS0_14default_configENS1_22reduce_config_selectorIfEEZNS1_11reduce_implILb1ES3_PfS7_fN6thrust23THRUST_200600_302600_NS4plusIfEEEE10hipError_tPvRmT1_T2_T3_mT4_P12ihipStream_tbEUlT_E0_NS1_11comp_targetILNS1_3genE10ELNS1_11target_archE1200ELNS1_3gpuE4ELNS1_3repE0EEENS1_30default_config_static_selectorELNS0_4arch9wavefront6targetE0EEEvSF_
	.globl	_ZN7rocprim17ROCPRIM_400000_NS6detail17trampoline_kernelINS0_14default_configENS1_22reduce_config_selectorIfEEZNS1_11reduce_implILb1ES3_PfS7_fN6thrust23THRUST_200600_302600_NS4plusIfEEEE10hipError_tPvRmT1_T2_T3_mT4_P12ihipStream_tbEUlT_E0_NS1_11comp_targetILNS1_3genE10ELNS1_11target_archE1200ELNS1_3gpuE4ELNS1_3repE0EEENS1_30default_config_static_selectorELNS0_4arch9wavefront6targetE0EEEvSF_
	.p2align	8
	.type	_ZN7rocprim17ROCPRIM_400000_NS6detail17trampoline_kernelINS0_14default_configENS1_22reduce_config_selectorIfEEZNS1_11reduce_implILb1ES3_PfS7_fN6thrust23THRUST_200600_302600_NS4plusIfEEEE10hipError_tPvRmT1_T2_T3_mT4_P12ihipStream_tbEUlT_E0_NS1_11comp_targetILNS1_3genE10ELNS1_11target_archE1200ELNS1_3gpuE4ELNS1_3repE0EEENS1_30default_config_static_selectorELNS0_4arch9wavefront6targetE0EEEvSF_,@function
_ZN7rocprim17ROCPRIM_400000_NS6detail17trampoline_kernelINS0_14default_configENS1_22reduce_config_selectorIfEEZNS1_11reduce_implILb1ES3_PfS7_fN6thrust23THRUST_200600_302600_NS4plusIfEEEE10hipError_tPvRmT1_T2_T3_mT4_P12ihipStream_tbEUlT_E0_NS1_11comp_targetILNS1_3genE10ELNS1_11target_archE1200ELNS1_3gpuE4ELNS1_3repE0EEENS1_30default_config_static_selectorELNS0_4arch9wavefront6targetE0EEEvSF_: ; @_ZN7rocprim17ROCPRIM_400000_NS6detail17trampoline_kernelINS0_14default_configENS1_22reduce_config_selectorIfEEZNS1_11reduce_implILb1ES3_PfS7_fN6thrust23THRUST_200600_302600_NS4plusIfEEEE10hipError_tPvRmT1_T2_T3_mT4_P12ihipStream_tbEUlT_E0_NS1_11comp_targetILNS1_3genE10ELNS1_11target_archE1200ELNS1_3gpuE4ELNS1_3repE0EEENS1_30default_config_static_selectorELNS0_4arch9wavefront6targetE0EEEvSF_
; %bb.0:
	.section	.rodata,"a",@progbits
	.p2align	6, 0x0
	.amdhsa_kernel _ZN7rocprim17ROCPRIM_400000_NS6detail17trampoline_kernelINS0_14default_configENS1_22reduce_config_selectorIfEEZNS1_11reduce_implILb1ES3_PfS7_fN6thrust23THRUST_200600_302600_NS4plusIfEEEE10hipError_tPvRmT1_T2_T3_mT4_P12ihipStream_tbEUlT_E0_NS1_11comp_targetILNS1_3genE10ELNS1_11target_archE1200ELNS1_3gpuE4ELNS1_3repE0EEENS1_30default_config_static_selectorELNS0_4arch9wavefront6targetE0EEEvSF_
		.amdhsa_group_segment_fixed_size 0
		.amdhsa_private_segment_fixed_size 0
		.amdhsa_kernarg_size 56
		.amdhsa_user_sgpr_count 2
		.amdhsa_user_sgpr_dispatch_ptr 0
		.amdhsa_user_sgpr_queue_ptr 0
		.amdhsa_user_sgpr_kernarg_segment_ptr 1
		.amdhsa_user_sgpr_dispatch_id 0
		.amdhsa_user_sgpr_kernarg_preload_length 0
		.amdhsa_user_sgpr_kernarg_preload_offset 0
		.amdhsa_user_sgpr_private_segment_size 0
		.amdhsa_wavefront_size32 1
		.amdhsa_uses_dynamic_stack 0
		.amdhsa_enable_private_segment 0
		.amdhsa_system_sgpr_workgroup_id_x 1
		.amdhsa_system_sgpr_workgroup_id_y 0
		.amdhsa_system_sgpr_workgroup_id_z 0
		.amdhsa_system_sgpr_workgroup_info 0
		.amdhsa_system_vgpr_workitem_id 0
		.amdhsa_next_free_vgpr 1
		.amdhsa_next_free_sgpr 1
		.amdhsa_named_barrier_count 0
		.amdhsa_reserve_vcc 0
		.amdhsa_float_round_mode_32 0
		.amdhsa_float_round_mode_16_64 0
		.amdhsa_float_denorm_mode_32 3
		.amdhsa_float_denorm_mode_16_64 3
		.amdhsa_fp16_overflow 0
		.amdhsa_memory_ordered 1
		.amdhsa_forward_progress 1
		.amdhsa_inst_pref_size 0
		.amdhsa_round_robin_scheduling 0
		.amdhsa_exception_fp_ieee_invalid_op 0
		.amdhsa_exception_fp_denorm_src 0
		.amdhsa_exception_fp_ieee_div_zero 0
		.amdhsa_exception_fp_ieee_overflow 0
		.amdhsa_exception_fp_ieee_underflow 0
		.amdhsa_exception_fp_ieee_inexact 0
		.amdhsa_exception_int_div_zero 0
	.end_amdhsa_kernel
	.section	.text._ZN7rocprim17ROCPRIM_400000_NS6detail17trampoline_kernelINS0_14default_configENS1_22reduce_config_selectorIfEEZNS1_11reduce_implILb1ES3_PfS7_fN6thrust23THRUST_200600_302600_NS4plusIfEEEE10hipError_tPvRmT1_T2_T3_mT4_P12ihipStream_tbEUlT_E0_NS1_11comp_targetILNS1_3genE10ELNS1_11target_archE1200ELNS1_3gpuE4ELNS1_3repE0EEENS1_30default_config_static_selectorELNS0_4arch9wavefront6targetE0EEEvSF_,"axG",@progbits,_ZN7rocprim17ROCPRIM_400000_NS6detail17trampoline_kernelINS0_14default_configENS1_22reduce_config_selectorIfEEZNS1_11reduce_implILb1ES3_PfS7_fN6thrust23THRUST_200600_302600_NS4plusIfEEEE10hipError_tPvRmT1_T2_T3_mT4_P12ihipStream_tbEUlT_E0_NS1_11comp_targetILNS1_3genE10ELNS1_11target_archE1200ELNS1_3gpuE4ELNS1_3repE0EEENS1_30default_config_static_selectorELNS0_4arch9wavefront6targetE0EEEvSF_,comdat
.Lfunc_end6:
	.size	_ZN7rocprim17ROCPRIM_400000_NS6detail17trampoline_kernelINS0_14default_configENS1_22reduce_config_selectorIfEEZNS1_11reduce_implILb1ES3_PfS7_fN6thrust23THRUST_200600_302600_NS4plusIfEEEE10hipError_tPvRmT1_T2_T3_mT4_P12ihipStream_tbEUlT_E0_NS1_11comp_targetILNS1_3genE10ELNS1_11target_archE1200ELNS1_3gpuE4ELNS1_3repE0EEENS1_30default_config_static_selectorELNS0_4arch9wavefront6targetE0EEEvSF_, .Lfunc_end6-_ZN7rocprim17ROCPRIM_400000_NS6detail17trampoline_kernelINS0_14default_configENS1_22reduce_config_selectorIfEEZNS1_11reduce_implILb1ES3_PfS7_fN6thrust23THRUST_200600_302600_NS4plusIfEEEE10hipError_tPvRmT1_T2_T3_mT4_P12ihipStream_tbEUlT_E0_NS1_11comp_targetILNS1_3genE10ELNS1_11target_archE1200ELNS1_3gpuE4ELNS1_3repE0EEENS1_30default_config_static_selectorELNS0_4arch9wavefront6targetE0EEEvSF_
                                        ; -- End function
	.set _ZN7rocprim17ROCPRIM_400000_NS6detail17trampoline_kernelINS0_14default_configENS1_22reduce_config_selectorIfEEZNS1_11reduce_implILb1ES3_PfS7_fN6thrust23THRUST_200600_302600_NS4plusIfEEEE10hipError_tPvRmT1_T2_T3_mT4_P12ihipStream_tbEUlT_E0_NS1_11comp_targetILNS1_3genE10ELNS1_11target_archE1200ELNS1_3gpuE4ELNS1_3repE0EEENS1_30default_config_static_selectorELNS0_4arch9wavefront6targetE0EEEvSF_.num_vgpr, 0
	.set _ZN7rocprim17ROCPRIM_400000_NS6detail17trampoline_kernelINS0_14default_configENS1_22reduce_config_selectorIfEEZNS1_11reduce_implILb1ES3_PfS7_fN6thrust23THRUST_200600_302600_NS4plusIfEEEE10hipError_tPvRmT1_T2_T3_mT4_P12ihipStream_tbEUlT_E0_NS1_11comp_targetILNS1_3genE10ELNS1_11target_archE1200ELNS1_3gpuE4ELNS1_3repE0EEENS1_30default_config_static_selectorELNS0_4arch9wavefront6targetE0EEEvSF_.num_agpr, 0
	.set _ZN7rocprim17ROCPRIM_400000_NS6detail17trampoline_kernelINS0_14default_configENS1_22reduce_config_selectorIfEEZNS1_11reduce_implILb1ES3_PfS7_fN6thrust23THRUST_200600_302600_NS4plusIfEEEE10hipError_tPvRmT1_T2_T3_mT4_P12ihipStream_tbEUlT_E0_NS1_11comp_targetILNS1_3genE10ELNS1_11target_archE1200ELNS1_3gpuE4ELNS1_3repE0EEENS1_30default_config_static_selectorELNS0_4arch9wavefront6targetE0EEEvSF_.numbered_sgpr, 0
	.set _ZN7rocprim17ROCPRIM_400000_NS6detail17trampoline_kernelINS0_14default_configENS1_22reduce_config_selectorIfEEZNS1_11reduce_implILb1ES3_PfS7_fN6thrust23THRUST_200600_302600_NS4plusIfEEEE10hipError_tPvRmT1_T2_T3_mT4_P12ihipStream_tbEUlT_E0_NS1_11comp_targetILNS1_3genE10ELNS1_11target_archE1200ELNS1_3gpuE4ELNS1_3repE0EEENS1_30default_config_static_selectorELNS0_4arch9wavefront6targetE0EEEvSF_.num_named_barrier, 0
	.set _ZN7rocprim17ROCPRIM_400000_NS6detail17trampoline_kernelINS0_14default_configENS1_22reduce_config_selectorIfEEZNS1_11reduce_implILb1ES3_PfS7_fN6thrust23THRUST_200600_302600_NS4plusIfEEEE10hipError_tPvRmT1_T2_T3_mT4_P12ihipStream_tbEUlT_E0_NS1_11comp_targetILNS1_3genE10ELNS1_11target_archE1200ELNS1_3gpuE4ELNS1_3repE0EEENS1_30default_config_static_selectorELNS0_4arch9wavefront6targetE0EEEvSF_.private_seg_size, 0
	.set _ZN7rocprim17ROCPRIM_400000_NS6detail17trampoline_kernelINS0_14default_configENS1_22reduce_config_selectorIfEEZNS1_11reduce_implILb1ES3_PfS7_fN6thrust23THRUST_200600_302600_NS4plusIfEEEE10hipError_tPvRmT1_T2_T3_mT4_P12ihipStream_tbEUlT_E0_NS1_11comp_targetILNS1_3genE10ELNS1_11target_archE1200ELNS1_3gpuE4ELNS1_3repE0EEENS1_30default_config_static_selectorELNS0_4arch9wavefront6targetE0EEEvSF_.uses_vcc, 0
	.set _ZN7rocprim17ROCPRIM_400000_NS6detail17trampoline_kernelINS0_14default_configENS1_22reduce_config_selectorIfEEZNS1_11reduce_implILb1ES3_PfS7_fN6thrust23THRUST_200600_302600_NS4plusIfEEEE10hipError_tPvRmT1_T2_T3_mT4_P12ihipStream_tbEUlT_E0_NS1_11comp_targetILNS1_3genE10ELNS1_11target_archE1200ELNS1_3gpuE4ELNS1_3repE0EEENS1_30default_config_static_selectorELNS0_4arch9wavefront6targetE0EEEvSF_.uses_flat_scratch, 0
	.set _ZN7rocprim17ROCPRIM_400000_NS6detail17trampoline_kernelINS0_14default_configENS1_22reduce_config_selectorIfEEZNS1_11reduce_implILb1ES3_PfS7_fN6thrust23THRUST_200600_302600_NS4plusIfEEEE10hipError_tPvRmT1_T2_T3_mT4_P12ihipStream_tbEUlT_E0_NS1_11comp_targetILNS1_3genE10ELNS1_11target_archE1200ELNS1_3gpuE4ELNS1_3repE0EEENS1_30default_config_static_selectorELNS0_4arch9wavefront6targetE0EEEvSF_.has_dyn_sized_stack, 0
	.set _ZN7rocprim17ROCPRIM_400000_NS6detail17trampoline_kernelINS0_14default_configENS1_22reduce_config_selectorIfEEZNS1_11reduce_implILb1ES3_PfS7_fN6thrust23THRUST_200600_302600_NS4plusIfEEEE10hipError_tPvRmT1_T2_T3_mT4_P12ihipStream_tbEUlT_E0_NS1_11comp_targetILNS1_3genE10ELNS1_11target_archE1200ELNS1_3gpuE4ELNS1_3repE0EEENS1_30default_config_static_selectorELNS0_4arch9wavefront6targetE0EEEvSF_.has_recursion, 0
	.set _ZN7rocprim17ROCPRIM_400000_NS6detail17trampoline_kernelINS0_14default_configENS1_22reduce_config_selectorIfEEZNS1_11reduce_implILb1ES3_PfS7_fN6thrust23THRUST_200600_302600_NS4plusIfEEEE10hipError_tPvRmT1_T2_T3_mT4_P12ihipStream_tbEUlT_E0_NS1_11comp_targetILNS1_3genE10ELNS1_11target_archE1200ELNS1_3gpuE4ELNS1_3repE0EEENS1_30default_config_static_selectorELNS0_4arch9wavefront6targetE0EEEvSF_.has_indirect_call, 0
	.section	.AMDGPU.csdata,"",@progbits
; Kernel info:
; codeLenInByte = 0
; TotalNumSgprs: 0
; NumVgprs: 0
; ScratchSize: 0
; MemoryBound: 0
; FloatMode: 240
; IeeeMode: 1
; LDSByteSize: 0 bytes/workgroup (compile time only)
; SGPRBlocks: 0
; VGPRBlocks: 0
; NumSGPRsForWavesPerEU: 1
; NumVGPRsForWavesPerEU: 1
; NamedBarCnt: 0
; Occupancy: 16
; WaveLimiterHint : 0
; COMPUTE_PGM_RSRC2:SCRATCH_EN: 0
; COMPUTE_PGM_RSRC2:USER_SGPR: 2
; COMPUTE_PGM_RSRC2:TRAP_HANDLER: 0
; COMPUTE_PGM_RSRC2:TGID_X_EN: 1
; COMPUTE_PGM_RSRC2:TGID_Y_EN: 0
; COMPUTE_PGM_RSRC2:TGID_Z_EN: 0
; COMPUTE_PGM_RSRC2:TIDIG_COMP_CNT: 0
	.section	.text._ZN7rocprim17ROCPRIM_400000_NS6detail17trampoline_kernelINS0_14default_configENS1_22reduce_config_selectorIfEEZNS1_11reduce_implILb1ES3_PfS7_fN6thrust23THRUST_200600_302600_NS4plusIfEEEE10hipError_tPvRmT1_T2_T3_mT4_P12ihipStream_tbEUlT_E0_NS1_11comp_targetILNS1_3genE9ELNS1_11target_archE1100ELNS1_3gpuE3ELNS1_3repE0EEENS1_30default_config_static_selectorELNS0_4arch9wavefront6targetE0EEEvSF_,"axG",@progbits,_ZN7rocprim17ROCPRIM_400000_NS6detail17trampoline_kernelINS0_14default_configENS1_22reduce_config_selectorIfEEZNS1_11reduce_implILb1ES3_PfS7_fN6thrust23THRUST_200600_302600_NS4plusIfEEEE10hipError_tPvRmT1_T2_T3_mT4_P12ihipStream_tbEUlT_E0_NS1_11comp_targetILNS1_3genE9ELNS1_11target_archE1100ELNS1_3gpuE3ELNS1_3repE0EEENS1_30default_config_static_selectorELNS0_4arch9wavefront6targetE0EEEvSF_,comdat
	.protected	_ZN7rocprim17ROCPRIM_400000_NS6detail17trampoline_kernelINS0_14default_configENS1_22reduce_config_selectorIfEEZNS1_11reduce_implILb1ES3_PfS7_fN6thrust23THRUST_200600_302600_NS4plusIfEEEE10hipError_tPvRmT1_T2_T3_mT4_P12ihipStream_tbEUlT_E0_NS1_11comp_targetILNS1_3genE9ELNS1_11target_archE1100ELNS1_3gpuE3ELNS1_3repE0EEENS1_30default_config_static_selectorELNS0_4arch9wavefront6targetE0EEEvSF_ ; -- Begin function _ZN7rocprim17ROCPRIM_400000_NS6detail17trampoline_kernelINS0_14default_configENS1_22reduce_config_selectorIfEEZNS1_11reduce_implILb1ES3_PfS7_fN6thrust23THRUST_200600_302600_NS4plusIfEEEE10hipError_tPvRmT1_T2_T3_mT4_P12ihipStream_tbEUlT_E0_NS1_11comp_targetILNS1_3genE9ELNS1_11target_archE1100ELNS1_3gpuE3ELNS1_3repE0EEENS1_30default_config_static_selectorELNS0_4arch9wavefront6targetE0EEEvSF_
	.globl	_ZN7rocprim17ROCPRIM_400000_NS6detail17trampoline_kernelINS0_14default_configENS1_22reduce_config_selectorIfEEZNS1_11reduce_implILb1ES3_PfS7_fN6thrust23THRUST_200600_302600_NS4plusIfEEEE10hipError_tPvRmT1_T2_T3_mT4_P12ihipStream_tbEUlT_E0_NS1_11comp_targetILNS1_3genE9ELNS1_11target_archE1100ELNS1_3gpuE3ELNS1_3repE0EEENS1_30default_config_static_selectorELNS0_4arch9wavefront6targetE0EEEvSF_
	.p2align	8
	.type	_ZN7rocprim17ROCPRIM_400000_NS6detail17trampoline_kernelINS0_14default_configENS1_22reduce_config_selectorIfEEZNS1_11reduce_implILb1ES3_PfS7_fN6thrust23THRUST_200600_302600_NS4plusIfEEEE10hipError_tPvRmT1_T2_T3_mT4_P12ihipStream_tbEUlT_E0_NS1_11comp_targetILNS1_3genE9ELNS1_11target_archE1100ELNS1_3gpuE3ELNS1_3repE0EEENS1_30default_config_static_selectorELNS0_4arch9wavefront6targetE0EEEvSF_,@function
_ZN7rocprim17ROCPRIM_400000_NS6detail17trampoline_kernelINS0_14default_configENS1_22reduce_config_selectorIfEEZNS1_11reduce_implILb1ES3_PfS7_fN6thrust23THRUST_200600_302600_NS4plusIfEEEE10hipError_tPvRmT1_T2_T3_mT4_P12ihipStream_tbEUlT_E0_NS1_11comp_targetILNS1_3genE9ELNS1_11target_archE1100ELNS1_3gpuE3ELNS1_3repE0EEENS1_30default_config_static_selectorELNS0_4arch9wavefront6targetE0EEEvSF_: ; @_ZN7rocprim17ROCPRIM_400000_NS6detail17trampoline_kernelINS0_14default_configENS1_22reduce_config_selectorIfEEZNS1_11reduce_implILb1ES3_PfS7_fN6thrust23THRUST_200600_302600_NS4plusIfEEEE10hipError_tPvRmT1_T2_T3_mT4_P12ihipStream_tbEUlT_E0_NS1_11comp_targetILNS1_3genE9ELNS1_11target_archE1100ELNS1_3gpuE3ELNS1_3repE0EEENS1_30default_config_static_selectorELNS0_4arch9wavefront6targetE0EEEvSF_
; %bb.0:
	.section	.rodata,"a",@progbits
	.p2align	6, 0x0
	.amdhsa_kernel _ZN7rocprim17ROCPRIM_400000_NS6detail17trampoline_kernelINS0_14default_configENS1_22reduce_config_selectorIfEEZNS1_11reduce_implILb1ES3_PfS7_fN6thrust23THRUST_200600_302600_NS4plusIfEEEE10hipError_tPvRmT1_T2_T3_mT4_P12ihipStream_tbEUlT_E0_NS1_11comp_targetILNS1_3genE9ELNS1_11target_archE1100ELNS1_3gpuE3ELNS1_3repE0EEENS1_30default_config_static_selectorELNS0_4arch9wavefront6targetE0EEEvSF_
		.amdhsa_group_segment_fixed_size 0
		.amdhsa_private_segment_fixed_size 0
		.amdhsa_kernarg_size 56
		.amdhsa_user_sgpr_count 2
		.amdhsa_user_sgpr_dispatch_ptr 0
		.amdhsa_user_sgpr_queue_ptr 0
		.amdhsa_user_sgpr_kernarg_segment_ptr 1
		.amdhsa_user_sgpr_dispatch_id 0
		.amdhsa_user_sgpr_kernarg_preload_length 0
		.amdhsa_user_sgpr_kernarg_preload_offset 0
		.amdhsa_user_sgpr_private_segment_size 0
		.amdhsa_wavefront_size32 1
		.amdhsa_uses_dynamic_stack 0
		.amdhsa_enable_private_segment 0
		.amdhsa_system_sgpr_workgroup_id_x 1
		.amdhsa_system_sgpr_workgroup_id_y 0
		.amdhsa_system_sgpr_workgroup_id_z 0
		.amdhsa_system_sgpr_workgroup_info 0
		.amdhsa_system_vgpr_workitem_id 0
		.amdhsa_next_free_vgpr 1
		.amdhsa_next_free_sgpr 1
		.amdhsa_named_barrier_count 0
		.amdhsa_reserve_vcc 0
		.amdhsa_float_round_mode_32 0
		.amdhsa_float_round_mode_16_64 0
		.amdhsa_float_denorm_mode_32 3
		.amdhsa_float_denorm_mode_16_64 3
		.amdhsa_fp16_overflow 0
		.amdhsa_memory_ordered 1
		.amdhsa_forward_progress 1
		.amdhsa_inst_pref_size 0
		.amdhsa_round_robin_scheduling 0
		.amdhsa_exception_fp_ieee_invalid_op 0
		.amdhsa_exception_fp_denorm_src 0
		.amdhsa_exception_fp_ieee_div_zero 0
		.amdhsa_exception_fp_ieee_overflow 0
		.amdhsa_exception_fp_ieee_underflow 0
		.amdhsa_exception_fp_ieee_inexact 0
		.amdhsa_exception_int_div_zero 0
	.end_amdhsa_kernel
	.section	.text._ZN7rocprim17ROCPRIM_400000_NS6detail17trampoline_kernelINS0_14default_configENS1_22reduce_config_selectorIfEEZNS1_11reduce_implILb1ES3_PfS7_fN6thrust23THRUST_200600_302600_NS4plusIfEEEE10hipError_tPvRmT1_T2_T3_mT4_P12ihipStream_tbEUlT_E0_NS1_11comp_targetILNS1_3genE9ELNS1_11target_archE1100ELNS1_3gpuE3ELNS1_3repE0EEENS1_30default_config_static_selectorELNS0_4arch9wavefront6targetE0EEEvSF_,"axG",@progbits,_ZN7rocprim17ROCPRIM_400000_NS6detail17trampoline_kernelINS0_14default_configENS1_22reduce_config_selectorIfEEZNS1_11reduce_implILb1ES3_PfS7_fN6thrust23THRUST_200600_302600_NS4plusIfEEEE10hipError_tPvRmT1_T2_T3_mT4_P12ihipStream_tbEUlT_E0_NS1_11comp_targetILNS1_3genE9ELNS1_11target_archE1100ELNS1_3gpuE3ELNS1_3repE0EEENS1_30default_config_static_selectorELNS0_4arch9wavefront6targetE0EEEvSF_,comdat
.Lfunc_end7:
	.size	_ZN7rocprim17ROCPRIM_400000_NS6detail17trampoline_kernelINS0_14default_configENS1_22reduce_config_selectorIfEEZNS1_11reduce_implILb1ES3_PfS7_fN6thrust23THRUST_200600_302600_NS4plusIfEEEE10hipError_tPvRmT1_T2_T3_mT4_P12ihipStream_tbEUlT_E0_NS1_11comp_targetILNS1_3genE9ELNS1_11target_archE1100ELNS1_3gpuE3ELNS1_3repE0EEENS1_30default_config_static_selectorELNS0_4arch9wavefront6targetE0EEEvSF_, .Lfunc_end7-_ZN7rocprim17ROCPRIM_400000_NS6detail17trampoline_kernelINS0_14default_configENS1_22reduce_config_selectorIfEEZNS1_11reduce_implILb1ES3_PfS7_fN6thrust23THRUST_200600_302600_NS4plusIfEEEE10hipError_tPvRmT1_T2_T3_mT4_P12ihipStream_tbEUlT_E0_NS1_11comp_targetILNS1_3genE9ELNS1_11target_archE1100ELNS1_3gpuE3ELNS1_3repE0EEENS1_30default_config_static_selectorELNS0_4arch9wavefront6targetE0EEEvSF_
                                        ; -- End function
	.set _ZN7rocprim17ROCPRIM_400000_NS6detail17trampoline_kernelINS0_14default_configENS1_22reduce_config_selectorIfEEZNS1_11reduce_implILb1ES3_PfS7_fN6thrust23THRUST_200600_302600_NS4plusIfEEEE10hipError_tPvRmT1_T2_T3_mT4_P12ihipStream_tbEUlT_E0_NS1_11comp_targetILNS1_3genE9ELNS1_11target_archE1100ELNS1_3gpuE3ELNS1_3repE0EEENS1_30default_config_static_selectorELNS0_4arch9wavefront6targetE0EEEvSF_.num_vgpr, 0
	.set _ZN7rocprim17ROCPRIM_400000_NS6detail17trampoline_kernelINS0_14default_configENS1_22reduce_config_selectorIfEEZNS1_11reduce_implILb1ES3_PfS7_fN6thrust23THRUST_200600_302600_NS4plusIfEEEE10hipError_tPvRmT1_T2_T3_mT4_P12ihipStream_tbEUlT_E0_NS1_11comp_targetILNS1_3genE9ELNS1_11target_archE1100ELNS1_3gpuE3ELNS1_3repE0EEENS1_30default_config_static_selectorELNS0_4arch9wavefront6targetE0EEEvSF_.num_agpr, 0
	.set _ZN7rocprim17ROCPRIM_400000_NS6detail17trampoline_kernelINS0_14default_configENS1_22reduce_config_selectorIfEEZNS1_11reduce_implILb1ES3_PfS7_fN6thrust23THRUST_200600_302600_NS4plusIfEEEE10hipError_tPvRmT1_T2_T3_mT4_P12ihipStream_tbEUlT_E0_NS1_11comp_targetILNS1_3genE9ELNS1_11target_archE1100ELNS1_3gpuE3ELNS1_3repE0EEENS1_30default_config_static_selectorELNS0_4arch9wavefront6targetE0EEEvSF_.numbered_sgpr, 0
	.set _ZN7rocprim17ROCPRIM_400000_NS6detail17trampoline_kernelINS0_14default_configENS1_22reduce_config_selectorIfEEZNS1_11reduce_implILb1ES3_PfS7_fN6thrust23THRUST_200600_302600_NS4plusIfEEEE10hipError_tPvRmT1_T2_T3_mT4_P12ihipStream_tbEUlT_E0_NS1_11comp_targetILNS1_3genE9ELNS1_11target_archE1100ELNS1_3gpuE3ELNS1_3repE0EEENS1_30default_config_static_selectorELNS0_4arch9wavefront6targetE0EEEvSF_.num_named_barrier, 0
	.set _ZN7rocprim17ROCPRIM_400000_NS6detail17trampoline_kernelINS0_14default_configENS1_22reduce_config_selectorIfEEZNS1_11reduce_implILb1ES3_PfS7_fN6thrust23THRUST_200600_302600_NS4plusIfEEEE10hipError_tPvRmT1_T2_T3_mT4_P12ihipStream_tbEUlT_E0_NS1_11comp_targetILNS1_3genE9ELNS1_11target_archE1100ELNS1_3gpuE3ELNS1_3repE0EEENS1_30default_config_static_selectorELNS0_4arch9wavefront6targetE0EEEvSF_.private_seg_size, 0
	.set _ZN7rocprim17ROCPRIM_400000_NS6detail17trampoline_kernelINS0_14default_configENS1_22reduce_config_selectorIfEEZNS1_11reduce_implILb1ES3_PfS7_fN6thrust23THRUST_200600_302600_NS4plusIfEEEE10hipError_tPvRmT1_T2_T3_mT4_P12ihipStream_tbEUlT_E0_NS1_11comp_targetILNS1_3genE9ELNS1_11target_archE1100ELNS1_3gpuE3ELNS1_3repE0EEENS1_30default_config_static_selectorELNS0_4arch9wavefront6targetE0EEEvSF_.uses_vcc, 0
	.set _ZN7rocprim17ROCPRIM_400000_NS6detail17trampoline_kernelINS0_14default_configENS1_22reduce_config_selectorIfEEZNS1_11reduce_implILb1ES3_PfS7_fN6thrust23THRUST_200600_302600_NS4plusIfEEEE10hipError_tPvRmT1_T2_T3_mT4_P12ihipStream_tbEUlT_E0_NS1_11comp_targetILNS1_3genE9ELNS1_11target_archE1100ELNS1_3gpuE3ELNS1_3repE0EEENS1_30default_config_static_selectorELNS0_4arch9wavefront6targetE0EEEvSF_.uses_flat_scratch, 0
	.set _ZN7rocprim17ROCPRIM_400000_NS6detail17trampoline_kernelINS0_14default_configENS1_22reduce_config_selectorIfEEZNS1_11reduce_implILb1ES3_PfS7_fN6thrust23THRUST_200600_302600_NS4plusIfEEEE10hipError_tPvRmT1_T2_T3_mT4_P12ihipStream_tbEUlT_E0_NS1_11comp_targetILNS1_3genE9ELNS1_11target_archE1100ELNS1_3gpuE3ELNS1_3repE0EEENS1_30default_config_static_selectorELNS0_4arch9wavefront6targetE0EEEvSF_.has_dyn_sized_stack, 0
	.set _ZN7rocprim17ROCPRIM_400000_NS6detail17trampoline_kernelINS0_14default_configENS1_22reduce_config_selectorIfEEZNS1_11reduce_implILb1ES3_PfS7_fN6thrust23THRUST_200600_302600_NS4plusIfEEEE10hipError_tPvRmT1_T2_T3_mT4_P12ihipStream_tbEUlT_E0_NS1_11comp_targetILNS1_3genE9ELNS1_11target_archE1100ELNS1_3gpuE3ELNS1_3repE0EEENS1_30default_config_static_selectorELNS0_4arch9wavefront6targetE0EEEvSF_.has_recursion, 0
	.set _ZN7rocprim17ROCPRIM_400000_NS6detail17trampoline_kernelINS0_14default_configENS1_22reduce_config_selectorIfEEZNS1_11reduce_implILb1ES3_PfS7_fN6thrust23THRUST_200600_302600_NS4plusIfEEEE10hipError_tPvRmT1_T2_T3_mT4_P12ihipStream_tbEUlT_E0_NS1_11comp_targetILNS1_3genE9ELNS1_11target_archE1100ELNS1_3gpuE3ELNS1_3repE0EEENS1_30default_config_static_selectorELNS0_4arch9wavefront6targetE0EEEvSF_.has_indirect_call, 0
	.section	.AMDGPU.csdata,"",@progbits
; Kernel info:
; codeLenInByte = 0
; TotalNumSgprs: 0
; NumVgprs: 0
; ScratchSize: 0
; MemoryBound: 0
; FloatMode: 240
; IeeeMode: 1
; LDSByteSize: 0 bytes/workgroup (compile time only)
; SGPRBlocks: 0
; VGPRBlocks: 0
; NumSGPRsForWavesPerEU: 1
; NumVGPRsForWavesPerEU: 1
; NamedBarCnt: 0
; Occupancy: 16
; WaveLimiterHint : 0
; COMPUTE_PGM_RSRC2:SCRATCH_EN: 0
; COMPUTE_PGM_RSRC2:USER_SGPR: 2
; COMPUTE_PGM_RSRC2:TRAP_HANDLER: 0
; COMPUTE_PGM_RSRC2:TGID_X_EN: 1
; COMPUTE_PGM_RSRC2:TGID_Y_EN: 0
; COMPUTE_PGM_RSRC2:TGID_Z_EN: 0
; COMPUTE_PGM_RSRC2:TIDIG_COMP_CNT: 0
	.section	.text._ZN7rocprim17ROCPRIM_400000_NS6detail17trampoline_kernelINS0_14default_configENS1_22reduce_config_selectorIfEEZNS1_11reduce_implILb1ES3_PfS7_fN6thrust23THRUST_200600_302600_NS4plusIfEEEE10hipError_tPvRmT1_T2_T3_mT4_P12ihipStream_tbEUlT_E0_NS1_11comp_targetILNS1_3genE8ELNS1_11target_archE1030ELNS1_3gpuE2ELNS1_3repE0EEENS1_30default_config_static_selectorELNS0_4arch9wavefront6targetE0EEEvSF_,"axG",@progbits,_ZN7rocprim17ROCPRIM_400000_NS6detail17trampoline_kernelINS0_14default_configENS1_22reduce_config_selectorIfEEZNS1_11reduce_implILb1ES3_PfS7_fN6thrust23THRUST_200600_302600_NS4plusIfEEEE10hipError_tPvRmT1_T2_T3_mT4_P12ihipStream_tbEUlT_E0_NS1_11comp_targetILNS1_3genE8ELNS1_11target_archE1030ELNS1_3gpuE2ELNS1_3repE0EEENS1_30default_config_static_selectorELNS0_4arch9wavefront6targetE0EEEvSF_,comdat
	.protected	_ZN7rocprim17ROCPRIM_400000_NS6detail17trampoline_kernelINS0_14default_configENS1_22reduce_config_selectorIfEEZNS1_11reduce_implILb1ES3_PfS7_fN6thrust23THRUST_200600_302600_NS4plusIfEEEE10hipError_tPvRmT1_T2_T3_mT4_P12ihipStream_tbEUlT_E0_NS1_11comp_targetILNS1_3genE8ELNS1_11target_archE1030ELNS1_3gpuE2ELNS1_3repE0EEENS1_30default_config_static_selectorELNS0_4arch9wavefront6targetE0EEEvSF_ ; -- Begin function _ZN7rocprim17ROCPRIM_400000_NS6detail17trampoline_kernelINS0_14default_configENS1_22reduce_config_selectorIfEEZNS1_11reduce_implILb1ES3_PfS7_fN6thrust23THRUST_200600_302600_NS4plusIfEEEE10hipError_tPvRmT1_T2_T3_mT4_P12ihipStream_tbEUlT_E0_NS1_11comp_targetILNS1_3genE8ELNS1_11target_archE1030ELNS1_3gpuE2ELNS1_3repE0EEENS1_30default_config_static_selectorELNS0_4arch9wavefront6targetE0EEEvSF_
	.globl	_ZN7rocprim17ROCPRIM_400000_NS6detail17trampoline_kernelINS0_14default_configENS1_22reduce_config_selectorIfEEZNS1_11reduce_implILb1ES3_PfS7_fN6thrust23THRUST_200600_302600_NS4plusIfEEEE10hipError_tPvRmT1_T2_T3_mT4_P12ihipStream_tbEUlT_E0_NS1_11comp_targetILNS1_3genE8ELNS1_11target_archE1030ELNS1_3gpuE2ELNS1_3repE0EEENS1_30default_config_static_selectorELNS0_4arch9wavefront6targetE0EEEvSF_
	.p2align	8
	.type	_ZN7rocprim17ROCPRIM_400000_NS6detail17trampoline_kernelINS0_14default_configENS1_22reduce_config_selectorIfEEZNS1_11reduce_implILb1ES3_PfS7_fN6thrust23THRUST_200600_302600_NS4plusIfEEEE10hipError_tPvRmT1_T2_T3_mT4_P12ihipStream_tbEUlT_E0_NS1_11comp_targetILNS1_3genE8ELNS1_11target_archE1030ELNS1_3gpuE2ELNS1_3repE0EEENS1_30default_config_static_selectorELNS0_4arch9wavefront6targetE0EEEvSF_,@function
_ZN7rocprim17ROCPRIM_400000_NS6detail17trampoline_kernelINS0_14default_configENS1_22reduce_config_selectorIfEEZNS1_11reduce_implILb1ES3_PfS7_fN6thrust23THRUST_200600_302600_NS4plusIfEEEE10hipError_tPvRmT1_T2_T3_mT4_P12ihipStream_tbEUlT_E0_NS1_11comp_targetILNS1_3genE8ELNS1_11target_archE1030ELNS1_3gpuE2ELNS1_3repE0EEENS1_30default_config_static_selectorELNS0_4arch9wavefront6targetE0EEEvSF_: ; @_ZN7rocprim17ROCPRIM_400000_NS6detail17trampoline_kernelINS0_14default_configENS1_22reduce_config_selectorIfEEZNS1_11reduce_implILb1ES3_PfS7_fN6thrust23THRUST_200600_302600_NS4plusIfEEEE10hipError_tPvRmT1_T2_T3_mT4_P12ihipStream_tbEUlT_E0_NS1_11comp_targetILNS1_3genE8ELNS1_11target_archE1030ELNS1_3gpuE2ELNS1_3repE0EEENS1_30default_config_static_selectorELNS0_4arch9wavefront6targetE0EEEvSF_
; %bb.0:
	.section	.rodata,"a",@progbits
	.p2align	6, 0x0
	.amdhsa_kernel _ZN7rocprim17ROCPRIM_400000_NS6detail17trampoline_kernelINS0_14default_configENS1_22reduce_config_selectorIfEEZNS1_11reduce_implILb1ES3_PfS7_fN6thrust23THRUST_200600_302600_NS4plusIfEEEE10hipError_tPvRmT1_T2_T3_mT4_P12ihipStream_tbEUlT_E0_NS1_11comp_targetILNS1_3genE8ELNS1_11target_archE1030ELNS1_3gpuE2ELNS1_3repE0EEENS1_30default_config_static_selectorELNS0_4arch9wavefront6targetE0EEEvSF_
		.amdhsa_group_segment_fixed_size 0
		.amdhsa_private_segment_fixed_size 0
		.amdhsa_kernarg_size 56
		.amdhsa_user_sgpr_count 2
		.amdhsa_user_sgpr_dispatch_ptr 0
		.amdhsa_user_sgpr_queue_ptr 0
		.amdhsa_user_sgpr_kernarg_segment_ptr 1
		.amdhsa_user_sgpr_dispatch_id 0
		.amdhsa_user_sgpr_kernarg_preload_length 0
		.amdhsa_user_sgpr_kernarg_preload_offset 0
		.amdhsa_user_sgpr_private_segment_size 0
		.amdhsa_wavefront_size32 1
		.amdhsa_uses_dynamic_stack 0
		.amdhsa_enable_private_segment 0
		.amdhsa_system_sgpr_workgroup_id_x 1
		.amdhsa_system_sgpr_workgroup_id_y 0
		.amdhsa_system_sgpr_workgroup_id_z 0
		.amdhsa_system_sgpr_workgroup_info 0
		.amdhsa_system_vgpr_workitem_id 0
		.amdhsa_next_free_vgpr 1
		.amdhsa_next_free_sgpr 1
		.amdhsa_named_barrier_count 0
		.amdhsa_reserve_vcc 0
		.amdhsa_float_round_mode_32 0
		.amdhsa_float_round_mode_16_64 0
		.amdhsa_float_denorm_mode_32 3
		.amdhsa_float_denorm_mode_16_64 3
		.amdhsa_fp16_overflow 0
		.amdhsa_memory_ordered 1
		.amdhsa_forward_progress 1
		.amdhsa_inst_pref_size 0
		.amdhsa_round_robin_scheduling 0
		.amdhsa_exception_fp_ieee_invalid_op 0
		.amdhsa_exception_fp_denorm_src 0
		.amdhsa_exception_fp_ieee_div_zero 0
		.amdhsa_exception_fp_ieee_overflow 0
		.amdhsa_exception_fp_ieee_underflow 0
		.amdhsa_exception_fp_ieee_inexact 0
		.amdhsa_exception_int_div_zero 0
	.end_amdhsa_kernel
	.section	.text._ZN7rocprim17ROCPRIM_400000_NS6detail17trampoline_kernelINS0_14default_configENS1_22reduce_config_selectorIfEEZNS1_11reduce_implILb1ES3_PfS7_fN6thrust23THRUST_200600_302600_NS4plusIfEEEE10hipError_tPvRmT1_T2_T3_mT4_P12ihipStream_tbEUlT_E0_NS1_11comp_targetILNS1_3genE8ELNS1_11target_archE1030ELNS1_3gpuE2ELNS1_3repE0EEENS1_30default_config_static_selectorELNS0_4arch9wavefront6targetE0EEEvSF_,"axG",@progbits,_ZN7rocprim17ROCPRIM_400000_NS6detail17trampoline_kernelINS0_14default_configENS1_22reduce_config_selectorIfEEZNS1_11reduce_implILb1ES3_PfS7_fN6thrust23THRUST_200600_302600_NS4plusIfEEEE10hipError_tPvRmT1_T2_T3_mT4_P12ihipStream_tbEUlT_E0_NS1_11comp_targetILNS1_3genE8ELNS1_11target_archE1030ELNS1_3gpuE2ELNS1_3repE0EEENS1_30default_config_static_selectorELNS0_4arch9wavefront6targetE0EEEvSF_,comdat
.Lfunc_end8:
	.size	_ZN7rocprim17ROCPRIM_400000_NS6detail17trampoline_kernelINS0_14default_configENS1_22reduce_config_selectorIfEEZNS1_11reduce_implILb1ES3_PfS7_fN6thrust23THRUST_200600_302600_NS4plusIfEEEE10hipError_tPvRmT1_T2_T3_mT4_P12ihipStream_tbEUlT_E0_NS1_11comp_targetILNS1_3genE8ELNS1_11target_archE1030ELNS1_3gpuE2ELNS1_3repE0EEENS1_30default_config_static_selectorELNS0_4arch9wavefront6targetE0EEEvSF_, .Lfunc_end8-_ZN7rocprim17ROCPRIM_400000_NS6detail17trampoline_kernelINS0_14default_configENS1_22reduce_config_selectorIfEEZNS1_11reduce_implILb1ES3_PfS7_fN6thrust23THRUST_200600_302600_NS4plusIfEEEE10hipError_tPvRmT1_T2_T3_mT4_P12ihipStream_tbEUlT_E0_NS1_11comp_targetILNS1_3genE8ELNS1_11target_archE1030ELNS1_3gpuE2ELNS1_3repE0EEENS1_30default_config_static_selectorELNS0_4arch9wavefront6targetE0EEEvSF_
                                        ; -- End function
	.set _ZN7rocprim17ROCPRIM_400000_NS6detail17trampoline_kernelINS0_14default_configENS1_22reduce_config_selectorIfEEZNS1_11reduce_implILb1ES3_PfS7_fN6thrust23THRUST_200600_302600_NS4plusIfEEEE10hipError_tPvRmT1_T2_T3_mT4_P12ihipStream_tbEUlT_E0_NS1_11comp_targetILNS1_3genE8ELNS1_11target_archE1030ELNS1_3gpuE2ELNS1_3repE0EEENS1_30default_config_static_selectorELNS0_4arch9wavefront6targetE0EEEvSF_.num_vgpr, 0
	.set _ZN7rocprim17ROCPRIM_400000_NS6detail17trampoline_kernelINS0_14default_configENS1_22reduce_config_selectorIfEEZNS1_11reduce_implILb1ES3_PfS7_fN6thrust23THRUST_200600_302600_NS4plusIfEEEE10hipError_tPvRmT1_T2_T3_mT4_P12ihipStream_tbEUlT_E0_NS1_11comp_targetILNS1_3genE8ELNS1_11target_archE1030ELNS1_3gpuE2ELNS1_3repE0EEENS1_30default_config_static_selectorELNS0_4arch9wavefront6targetE0EEEvSF_.num_agpr, 0
	.set _ZN7rocprim17ROCPRIM_400000_NS6detail17trampoline_kernelINS0_14default_configENS1_22reduce_config_selectorIfEEZNS1_11reduce_implILb1ES3_PfS7_fN6thrust23THRUST_200600_302600_NS4plusIfEEEE10hipError_tPvRmT1_T2_T3_mT4_P12ihipStream_tbEUlT_E0_NS1_11comp_targetILNS1_3genE8ELNS1_11target_archE1030ELNS1_3gpuE2ELNS1_3repE0EEENS1_30default_config_static_selectorELNS0_4arch9wavefront6targetE0EEEvSF_.numbered_sgpr, 0
	.set _ZN7rocprim17ROCPRIM_400000_NS6detail17trampoline_kernelINS0_14default_configENS1_22reduce_config_selectorIfEEZNS1_11reduce_implILb1ES3_PfS7_fN6thrust23THRUST_200600_302600_NS4plusIfEEEE10hipError_tPvRmT1_T2_T3_mT4_P12ihipStream_tbEUlT_E0_NS1_11comp_targetILNS1_3genE8ELNS1_11target_archE1030ELNS1_3gpuE2ELNS1_3repE0EEENS1_30default_config_static_selectorELNS0_4arch9wavefront6targetE0EEEvSF_.num_named_barrier, 0
	.set _ZN7rocprim17ROCPRIM_400000_NS6detail17trampoline_kernelINS0_14default_configENS1_22reduce_config_selectorIfEEZNS1_11reduce_implILb1ES3_PfS7_fN6thrust23THRUST_200600_302600_NS4plusIfEEEE10hipError_tPvRmT1_T2_T3_mT4_P12ihipStream_tbEUlT_E0_NS1_11comp_targetILNS1_3genE8ELNS1_11target_archE1030ELNS1_3gpuE2ELNS1_3repE0EEENS1_30default_config_static_selectorELNS0_4arch9wavefront6targetE0EEEvSF_.private_seg_size, 0
	.set _ZN7rocprim17ROCPRIM_400000_NS6detail17trampoline_kernelINS0_14default_configENS1_22reduce_config_selectorIfEEZNS1_11reduce_implILb1ES3_PfS7_fN6thrust23THRUST_200600_302600_NS4plusIfEEEE10hipError_tPvRmT1_T2_T3_mT4_P12ihipStream_tbEUlT_E0_NS1_11comp_targetILNS1_3genE8ELNS1_11target_archE1030ELNS1_3gpuE2ELNS1_3repE0EEENS1_30default_config_static_selectorELNS0_4arch9wavefront6targetE0EEEvSF_.uses_vcc, 0
	.set _ZN7rocprim17ROCPRIM_400000_NS6detail17trampoline_kernelINS0_14default_configENS1_22reduce_config_selectorIfEEZNS1_11reduce_implILb1ES3_PfS7_fN6thrust23THRUST_200600_302600_NS4plusIfEEEE10hipError_tPvRmT1_T2_T3_mT4_P12ihipStream_tbEUlT_E0_NS1_11comp_targetILNS1_3genE8ELNS1_11target_archE1030ELNS1_3gpuE2ELNS1_3repE0EEENS1_30default_config_static_selectorELNS0_4arch9wavefront6targetE0EEEvSF_.uses_flat_scratch, 0
	.set _ZN7rocprim17ROCPRIM_400000_NS6detail17trampoline_kernelINS0_14default_configENS1_22reduce_config_selectorIfEEZNS1_11reduce_implILb1ES3_PfS7_fN6thrust23THRUST_200600_302600_NS4plusIfEEEE10hipError_tPvRmT1_T2_T3_mT4_P12ihipStream_tbEUlT_E0_NS1_11comp_targetILNS1_3genE8ELNS1_11target_archE1030ELNS1_3gpuE2ELNS1_3repE0EEENS1_30default_config_static_selectorELNS0_4arch9wavefront6targetE0EEEvSF_.has_dyn_sized_stack, 0
	.set _ZN7rocprim17ROCPRIM_400000_NS6detail17trampoline_kernelINS0_14default_configENS1_22reduce_config_selectorIfEEZNS1_11reduce_implILb1ES3_PfS7_fN6thrust23THRUST_200600_302600_NS4plusIfEEEE10hipError_tPvRmT1_T2_T3_mT4_P12ihipStream_tbEUlT_E0_NS1_11comp_targetILNS1_3genE8ELNS1_11target_archE1030ELNS1_3gpuE2ELNS1_3repE0EEENS1_30default_config_static_selectorELNS0_4arch9wavefront6targetE0EEEvSF_.has_recursion, 0
	.set _ZN7rocprim17ROCPRIM_400000_NS6detail17trampoline_kernelINS0_14default_configENS1_22reduce_config_selectorIfEEZNS1_11reduce_implILb1ES3_PfS7_fN6thrust23THRUST_200600_302600_NS4plusIfEEEE10hipError_tPvRmT1_T2_T3_mT4_P12ihipStream_tbEUlT_E0_NS1_11comp_targetILNS1_3genE8ELNS1_11target_archE1030ELNS1_3gpuE2ELNS1_3repE0EEENS1_30default_config_static_selectorELNS0_4arch9wavefront6targetE0EEEvSF_.has_indirect_call, 0
	.section	.AMDGPU.csdata,"",@progbits
; Kernel info:
; codeLenInByte = 0
; TotalNumSgprs: 0
; NumVgprs: 0
; ScratchSize: 0
; MemoryBound: 0
; FloatMode: 240
; IeeeMode: 1
; LDSByteSize: 0 bytes/workgroup (compile time only)
; SGPRBlocks: 0
; VGPRBlocks: 0
; NumSGPRsForWavesPerEU: 1
; NumVGPRsForWavesPerEU: 1
; NamedBarCnt: 0
; Occupancy: 16
; WaveLimiterHint : 0
; COMPUTE_PGM_RSRC2:SCRATCH_EN: 0
; COMPUTE_PGM_RSRC2:USER_SGPR: 2
; COMPUTE_PGM_RSRC2:TRAP_HANDLER: 0
; COMPUTE_PGM_RSRC2:TGID_X_EN: 1
; COMPUTE_PGM_RSRC2:TGID_Y_EN: 0
; COMPUTE_PGM_RSRC2:TGID_Z_EN: 0
; COMPUTE_PGM_RSRC2:TIDIG_COMP_CNT: 0
	.section	.text._ZN7rocprim17ROCPRIM_400000_NS6detail17trampoline_kernelINS0_14default_configENS1_22reduce_config_selectorIfEEZNS1_11reduce_implILb1ES3_PfS7_fN6thrust23THRUST_200600_302600_NS4plusIfEEEE10hipError_tPvRmT1_T2_T3_mT4_P12ihipStream_tbEUlT_E1_NS1_11comp_targetILNS1_3genE0ELNS1_11target_archE4294967295ELNS1_3gpuE0ELNS1_3repE0EEENS1_30default_config_static_selectorELNS0_4arch9wavefront6targetE0EEEvSF_,"axG",@progbits,_ZN7rocprim17ROCPRIM_400000_NS6detail17trampoline_kernelINS0_14default_configENS1_22reduce_config_selectorIfEEZNS1_11reduce_implILb1ES3_PfS7_fN6thrust23THRUST_200600_302600_NS4plusIfEEEE10hipError_tPvRmT1_T2_T3_mT4_P12ihipStream_tbEUlT_E1_NS1_11comp_targetILNS1_3genE0ELNS1_11target_archE4294967295ELNS1_3gpuE0ELNS1_3repE0EEENS1_30default_config_static_selectorELNS0_4arch9wavefront6targetE0EEEvSF_,comdat
	.protected	_ZN7rocprim17ROCPRIM_400000_NS6detail17trampoline_kernelINS0_14default_configENS1_22reduce_config_selectorIfEEZNS1_11reduce_implILb1ES3_PfS7_fN6thrust23THRUST_200600_302600_NS4plusIfEEEE10hipError_tPvRmT1_T2_T3_mT4_P12ihipStream_tbEUlT_E1_NS1_11comp_targetILNS1_3genE0ELNS1_11target_archE4294967295ELNS1_3gpuE0ELNS1_3repE0EEENS1_30default_config_static_selectorELNS0_4arch9wavefront6targetE0EEEvSF_ ; -- Begin function _ZN7rocprim17ROCPRIM_400000_NS6detail17trampoline_kernelINS0_14default_configENS1_22reduce_config_selectorIfEEZNS1_11reduce_implILb1ES3_PfS7_fN6thrust23THRUST_200600_302600_NS4plusIfEEEE10hipError_tPvRmT1_T2_T3_mT4_P12ihipStream_tbEUlT_E1_NS1_11comp_targetILNS1_3genE0ELNS1_11target_archE4294967295ELNS1_3gpuE0ELNS1_3repE0EEENS1_30default_config_static_selectorELNS0_4arch9wavefront6targetE0EEEvSF_
	.globl	_ZN7rocprim17ROCPRIM_400000_NS6detail17trampoline_kernelINS0_14default_configENS1_22reduce_config_selectorIfEEZNS1_11reduce_implILb1ES3_PfS7_fN6thrust23THRUST_200600_302600_NS4plusIfEEEE10hipError_tPvRmT1_T2_T3_mT4_P12ihipStream_tbEUlT_E1_NS1_11comp_targetILNS1_3genE0ELNS1_11target_archE4294967295ELNS1_3gpuE0ELNS1_3repE0EEENS1_30default_config_static_selectorELNS0_4arch9wavefront6targetE0EEEvSF_
	.p2align	8
	.type	_ZN7rocprim17ROCPRIM_400000_NS6detail17trampoline_kernelINS0_14default_configENS1_22reduce_config_selectorIfEEZNS1_11reduce_implILb1ES3_PfS7_fN6thrust23THRUST_200600_302600_NS4plusIfEEEE10hipError_tPvRmT1_T2_T3_mT4_P12ihipStream_tbEUlT_E1_NS1_11comp_targetILNS1_3genE0ELNS1_11target_archE4294967295ELNS1_3gpuE0ELNS1_3repE0EEENS1_30default_config_static_selectorELNS0_4arch9wavefront6targetE0EEEvSF_,@function
_ZN7rocprim17ROCPRIM_400000_NS6detail17trampoline_kernelINS0_14default_configENS1_22reduce_config_selectorIfEEZNS1_11reduce_implILb1ES3_PfS7_fN6thrust23THRUST_200600_302600_NS4plusIfEEEE10hipError_tPvRmT1_T2_T3_mT4_P12ihipStream_tbEUlT_E1_NS1_11comp_targetILNS1_3genE0ELNS1_11target_archE4294967295ELNS1_3gpuE0ELNS1_3repE0EEENS1_30default_config_static_selectorELNS0_4arch9wavefront6targetE0EEEvSF_: ; @_ZN7rocprim17ROCPRIM_400000_NS6detail17trampoline_kernelINS0_14default_configENS1_22reduce_config_selectorIfEEZNS1_11reduce_implILb1ES3_PfS7_fN6thrust23THRUST_200600_302600_NS4plusIfEEEE10hipError_tPvRmT1_T2_T3_mT4_P12ihipStream_tbEUlT_E1_NS1_11comp_targetILNS1_3genE0ELNS1_11target_archE4294967295ELNS1_3gpuE0ELNS1_3repE0EEENS1_30default_config_static_selectorELNS0_4arch9wavefront6targetE0EEEvSF_
; %bb.0:
	s_clause 0x1
	s_load_b32 s33, s[0:1], 0x4
	s_load_b128 s[36:39], s[0:1], 0x8
	s_wait_kmcnt 0x0
	s_cmp_lt_i32 s33, 8
	s_cbranch_scc1 .LBB9_11
; %bb.1:
	s_cmp_gt_i32 s33, 15
	s_cbranch_scc0 .LBB9_12
; %bb.2:
	s_cmp_gt_i32 s33, 31
	s_cbranch_scc0 .LBB9_13
; %bb.3:
	s_cmp_eq_u32 s33, 32
	s_mov_b32 s42, 0
	s_cbranch_scc0 .LBB9_14
; %bb.4:
	s_bfe_u32 s2, ttmp6, 0x4000c
	s_and_b32 s3, ttmp6, 15
	s_add_co_i32 s2, s2, 1
	s_getreg_b32 s4, hwreg(HW_REG_IB_STS2, 6, 4)
	s_mul_i32 s2, ttmp9, s2
	s_mov_b32 s35, 0
	s_add_co_i32 s3, s3, s2
	s_cmp_eq_u32 s4, 0
	s_cselect_b32 s34, ttmp9, s3
	s_mov_b32 s3, s35
	s_lshl_b32 s2, s34, 13
	s_lshr_b64 s[4:5], s[38:39], 13
	s_lshl_b64 s[6:7], s[2:3], 2
	s_cmp_lg_u64 s[4:5], s[34:35]
	s_add_nc_u64 s[40:41], s[36:37], s[6:7]
	s_cbranch_scc0 .LBB9_23
; %bb.5:
	s_clause 0x1f
	global_load_b32 v1, v0, s[40:41] scale_offset
	global_load_b32 v2, v0, s[40:41] offset:1024 scale_offset
	global_load_b32 v3, v0, s[40:41] offset:2048 scale_offset
	;; [unrolled: 1-line block ×31, first 2 shown]
	s_mov_b32 s3, exec_lo
	s_wait_loadcnt 0x1e
	v_add_f32_e32 v1, v1, v2
	s_wait_loadcnt 0x1d
	s_delay_alu instid0(VALU_DEP_1) | instskip(SKIP_1) | instid1(VALU_DEP_1)
	v_add_f32_e32 v1, v1, v3
	s_wait_loadcnt 0x1c
	v_add_f32_e32 v1, v1, v4
	s_wait_loadcnt 0x1b
	s_delay_alu instid0(VALU_DEP_1) | instskip(SKIP_1) | instid1(VALU_DEP_1)
	v_add_f32_e32 v1, v1, v5
	;; [unrolled: 5-line block ×15, first 2 shown]
	s_wait_loadcnt 0x0
	v_add_f32_e32 v1, v1, v32
	s_delay_alu instid0(VALU_DEP_1) | instskip(NEXT) | instid1(VALU_DEP_1)
	v_mov_b32_dpp v2, v1 quad_perm:[1,0,3,2] row_mask:0xf bank_mask:0xf
	v_add_f32_e32 v1, v1, v2
	s_delay_alu instid0(VALU_DEP_1) | instskip(NEXT) | instid1(VALU_DEP_1)
	v_mov_b32_dpp v2, v1 quad_perm:[2,3,0,1] row_mask:0xf bank_mask:0xf
	v_add_f32_e32 v1, v1, v2
	s_delay_alu instid0(VALU_DEP_1) | instskip(NEXT) | instid1(VALU_DEP_1)
	v_mov_b32_dpp v2, v1 row_ror:4 row_mask:0xf bank_mask:0xf
	v_add_f32_e32 v1, v1, v2
	s_delay_alu instid0(VALU_DEP_1) | instskip(NEXT) | instid1(VALU_DEP_1)
	v_mov_b32_dpp v2, v1 row_ror:8 row_mask:0xf bank_mask:0xf
	v_add_f32_e32 v1, v1, v2
	ds_swizzle_b32 v2, v1 offset:swizzle(BROADCAST,32,15)
	s_wait_dscnt 0x0
	v_dual_add_f32 v1, v1, v2 :: v_dual_mov_b32 v2, 0
	ds_bpermute_b32 v1, v2, v1 offset:124
	v_mbcnt_lo_u32_b32 v2, -1, 0
	s_delay_alu instid0(VALU_DEP_1)
	v_cmpx_eq_u32_e32 0, v2
	s_cbranch_execz .LBB9_7
; %bb.6:
	v_lshrrev_b32_e32 v3, 3, v0
	s_delay_alu instid0(VALU_DEP_1)
	v_and_b32_e32 v3, 28, v3
	s_wait_dscnt 0x0
	ds_store_b32 v3, v1 offset:96
.LBB9_7:
	s_or_b32 exec_lo, exec_lo, s3
	s_delay_alu instid0(SALU_CYCLE_1)
	s_mov_b32 s3, exec_lo
	s_wait_dscnt 0x0
	s_barrier_signal -1
	s_barrier_wait -1
	v_cmpx_gt_u32_e32 32, v0
	s_cbranch_execz .LBB9_9
; %bb.8:
	v_lshl_or_b32 v1, v2, 2, 0x60
	v_and_b32_e32 v3, 7, v2
	ds_load_b32 v1, v1
	v_cmp_ne_u32_e32 vcc_lo, 7, v3
	v_add_co_ci_u32_e64 v4, null, 0, v2, vcc_lo
	s_delay_alu instid0(VALU_DEP_1)
	v_lshlrev_b32_e32 v4, 2, v4
	v_cmp_gt_u32_e32 vcc_lo, 6, v3
	v_cndmask_b32_e64 v3, 0, 2, vcc_lo
	s_wait_dscnt 0x0
	ds_bpermute_b32 v4, v4, v1
	v_add_lshl_u32 v3, v3, v2, 2
	v_lshlrev_b32_e32 v2, 2, v2
	s_wait_dscnt 0x0
	s_delay_alu instid0(VALU_DEP_1)
	v_dual_add_f32 v1, v1, v4 :: v_dual_bitop2_b32 v2, 16, v2 bitop3:0x54
	ds_bpermute_b32 v3, v3, v1
	s_wait_dscnt 0x0
	v_add_f32_e32 v1, v1, v3
	ds_bpermute_b32 v2, v2, v1
	s_wait_dscnt 0x0
	v_add_f32_e32 v1, v1, v2
.LBB9_9:
	s_or_b32 exec_lo, exec_lo, s3
.LBB9_10:
	v_cmp_eq_u32_e64 s2, 0, v0
	s_and_b32 vcc_lo, exec_lo, s42
	s_cbranch_vccnz .LBB9_15
	s_branch .LBB9_93
.LBB9_11:
	s_mov_b32 s2, 0
                                        ; implicit-def: $vgpr1
                                        ; implicit-def: $sgpr34_sgpr35
	s_cbranch_execnz .LBB9_166
	s_branch .LBB9_224
.LBB9_12:
	s_mov_b32 s2, 0
                                        ; implicit-def: $vgpr1
                                        ; implicit-def: $sgpr34_sgpr35
	s_cbranch_execnz .LBB9_134
	s_branch .LBB9_142
.LBB9_13:
	s_mov_b32 s42, -1
.LBB9_14:
	s_mov_b32 s2, 0
                                        ; implicit-def: $vgpr1
                                        ; implicit-def: $sgpr34_sgpr35
	s_and_b32 vcc_lo, exec_lo, s42
	s_cbranch_vccz .LBB9_93
.LBB9_15:
	s_cmp_eq_u32 s33, 16
	s_cbranch_scc0 .LBB9_22
; %bb.16:
	s_bfe_u32 s2, ttmp6, 0x4000c
	s_and_b32 s3, ttmp6, 15
	s_add_co_i32 s2, s2, 1
	s_getreg_b32 s4, hwreg(HW_REG_IB_STS2, 6, 4)
	s_mul_i32 s2, ttmp9, s2
	s_mov_b32 s35, 0
	s_add_co_i32 s3, s3, s2
	s_cmp_eq_u32 s4, 0
	s_cselect_b32 s34, ttmp9, s3
	s_mov_b32 s3, s35
	s_lshl_b32 s2, s34, 12
	s_lshr_b64 s[4:5], s[38:39], 12
	s_lshl_b64 s[6:7], s[2:3], 2
	s_cmp_lg_u64 s[4:5], s[34:35]
	s_add_nc_u64 s[16:17], s[36:37], s[6:7]
	s_cbranch_scc0 .LBB9_94
; %bb.17:
	s_clause 0xf
	global_load_b32 v1, v0, s[16:17] scale_offset
	global_load_b32 v2, v0, s[16:17] offset:1024 scale_offset
	global_load_b32 v3, v0, s[16:17] offset:2048 scale_offset
	;; [unrolled: 1-line block ×15, first 2 shown]
	s_mov_b32 s3, exec_lo
	s_wait_loadcnt 0xe
	v_add_f32_e32 v1, v1, v2
	s_wait_loadcnt 0xd
	s_delay_alu instid0(VALU_DEP_1) | instskip(SKIP_1) | instid1(VALU_DEP_1)
	v_add_f32_e32 v1, v1, v3
	s_wait_loadcnt 0xc
	v_add_f32_e32 v1, v1, v4
	s_wait_loadcnt 0xb
	s_delay_alu instid0(VALU_DEP_1) | instskip(SKIP_1) | instid1(VALU_DEP_1)
	v_add_f32_e32 v1, v1, v5
	;; [unrolled: 5-line block ×7, first 2 shown]
	s_wait_loadcnt 0x0
	v_add_f32_e32 v1, v1, v16
	s_delay_alu instid0(VALU_DEP_1) | instskip(NEXT) | instid1(VALU_DEP_1)
	v_mov_b32_dpp v2, v1 quad_perm:[1,0,3,2] row_mask:0xf bank_mask:0xf
	v_add_f32_e32 v1, v1, v2
	s_delay_alu instid0(VALU_DEP_1) | instskip(NEXT) | instid1(VALU_DEP_1)
	v_mov_b32_dpp v2, v1 quad_perm:[2,3,0,1] row_mask:0xf bank_mask:0xf
	v_add_f32_e32 v1, v1, v2
	s_delay_alu instid0(VALU_DEP_1) | instskip(NEXT) | instid1(VALU_DEP_1)
	v_mov_b32_dpp v2, v1 row_ror:4 row_mask:0xf bank_mask:0xf
	v_add_f32_e32 v1, v1, v2
	s_delay_alu instid0(VALU_DEP_1) | instskip(NEXT) | instid1(VALU_DEP_1)
	v_mov_b32_dpp v2, v1 row_ror:8 row_mask:0xf bank_mask:0xf
	v_add_f32_e32 v1, v1, v2
	ds_swizzle_b32 v2, v1 offset:swizzle(BROADCAST,32,15)
	s_wait_dscnt 0x0
	v_dual_add_f32 v1, v1, v2 :: v_dual_mov_b32 v2, 0
	ds_bpermute_b32 v1, v2, v1 offset:124
	v_mbcnt_lo_u32_b32 v2, -1, 0
	s_delay_alu instid0(VALU_DEP_1)
	v_cmpx_eq_u32_e32 0, v2
	s_cbranch_execz .LBB9_19
; %bb.18:
	v_lshrrev_b32_e32 v3, 3, v0
	s_delay_alu instid0(VALU_DEP_1)
	v_and_b32_e32 v3, 28, v3
	s_wait_dscnt 0x0
	ds_store_b32 v3, v1
.LBB9_19:
	s_or_b32 exec_lo, exec_lo, s3
	s_delay_alu instid0(SALU_CYCLE_1)
	s_mov_b32 s3, exec_lo
	s_wait_dscnt 0x0
	s_barrier_signal -1
	s_barrier_wait -1
	v_cmpx_gt_u32_e32 32, v0
	s_cbranch_execz .LBB9_21
; %bb.20:
	v_and_b32_e32 v1, 7, v2
	s_delay_alu instid0(VALU_DEP_1) | instskip(SKIP_1) | instid1(VALU_DEP_1)
	v_cmp_ne_u32_e32 vcc_lo, 7, v1
	v_add_co_ci_u32_e64 v4, null, 0, v2, vcc_lo
	v_lshlrev_b32_e32 v4, 2, v4
	v_cmp_gt_u32_e32 vcc_lo, 6, v1
	v_lshlrev_b32_e32 v3, 2, v1
	v_cndmask_b32_e64 v1, 0, 2, vcc_lo
	s_delay_alu instid0(VALU_DEP_1)
	v_add_lshl_u32 v1, v1, v2, 2
	v_lshlrev_b32_e32 v2, 2, v2
	ds_load_b32 v3, v3
	v_or_b32_e32 v2, 16, v2
	s_wait_dscnt 0x0
	ds_bpermute_b32 v4, v4, v3
	s_wait_dscnt 0x0
	v_add_f32_e32 v3, v3, v4
	ds_bpermute_b32 v1, v1, v3
	s_wait_dscnt 0x0
	v_add_f32_e32 v1, v3, v1
	;; [unrolled: 3-line block ×3, first 2 shown]
.LBB9_21:
	s_or_b32 exec_lo, exec_lo, s3
	s_mov_b32 s3, 0
	s_branch .LBB9_95
.LBB9_22:
                                        ; implicit-def: $vgpr1
                                        ; implicit-def: $sgpr34_sgpr35
	s_branch .LBB9_142
.LBB9_23:
                                        ; implicit-def: $vgpr1
	s_cbranch_execz .LBB9_10
; %bb.24:
	v_mov_b32_e32 v2, 0
	s_sub_co_i32 s43, s38, s2
	s_delay_alu instid0(SALU_CYCLE_1) | instskip(NEXT) | instid1(VALU_DEP_2)
	v_cmp_gt_u32_e32 vcc_lo, s43, v0
	v_dual_mov_b32 v3, v2 :: v_dual_mov_b32 v4, v2
	v_dual_mov_b32 v5, v2 :: v_dual_mov_b32 v6, v2
	;; [unrolled: 1-line block ×15, first 2 shown]
	v_mov_b32_e32 v33, v2
	s_and_saveexec_b32 s2, vcc_lo
	s_cbranch_execz .LBB9_26
; %bb.25:
	global_load_b32 v4, v0, s[40:41] scale_offset
	v_dual_mov_b32 v5, v2 :: v_dual_mov_b32 v6, v2
	v_dual_mov_b32 v33, v2 :: v_dual_mov_b32 v34, v2
	;; [unrolled: 1-line block ×15, first 2 shown]
	v_mov_b32_e32 v32, v2
	s_wait_loadcnt 0x0
	v_mov_b64_e32 v[2:3], v[4:5]
	v_mov_b64_e32 v[4:5], v[6:7]
	;; [unrolled: 1-line block ×16, first 2 shown]
.LBB9_26:
	s_or_b32 exec_lo, exec_lo, s2
	v_or_b32_e32 v1, 0x100, v0
	s_delay_alu instid0(VALU_DEP_1)
	v_cmp_gt_u32_e32 vcc_lo, s43, v1
	s_and_saveexec_b32 s2, vcc_lo
	s_cbranch_execz .LBB9_28
; %bb.27:
	global_load_b32 v3, v0, s[40:41] offset:1024 scale_offset
.LBB9_28:
	s_wait_xcnt 0x0
	s_or_b32 exec_lo, exec_lo, s2
	v_or_b32_e32 v1, 0x200, v0
	s_delay_alu instid0(VALU_DEP_1)
	v_cmp_gt_u32_e64 s2, s43, v1
	s_and_saveexec_b32 s3, s2
	s_cbranch_execz .LBB9_30
; %bb.29:
	global_load_b32 v4, v0, s[40:41] offset:2048 scale_offset
.LBB9_30:
	s_wait_xcnt 0x0
	s_or_b32 exec_lo, exec_lo, s3
	v_or_b32_e32 v1, 0x300, v0
	s_delay_alu instid0(VALU_DEP_1)
	v_cmp_gt_u32_e64 s3, s43, v1
	s_and_saveexec_b32 s4, s3
	;; [unrolled: 10-line block ×30, first 2 shown]
	s_cbranch_execz .LBB9_88
; %bb.87:
	global_load_b32 v33, v0, s[40:41] offset:31744 scale_offset
.LBB9_88:
	s_wait_xcnt 0x0
	s_or_b32 exec_lo, exec_lo, s44
	s_wait_loadcnt 0x0
	v_add_f32_e32 v1, v2, v3
	s_delay_alu instid0(VALU_DEP_1) | instskip(NEXT) | instid1(VALU_DEP_1)
	v_cndmask_b32_e32 v1, v2, v1, vcc_lo
	v_add_f32_e32 v2, v4, v1
	s_delay_alu instid0(VALU_DEP_1) | instskip(NEXT) | instid1(VALU_DEP_1)
	v_cndmask_b32_e64 v1, v1, v2, s2
	v_add_f32_e32 v2, v5, v1
	s_delay_alu instid0(VALU_DEP_1) | instskip(SKIP_1) | instid1(VALU_DEP_1)
	v_cndmask_b32_e64 v1, v1, v2, s3
	s_min_u32 s3, s43, 0x100
	v_add_f32_e32 v2, v6, v1
	s_delay_alu instid0(VALU_DEP_1) | instskip(NEXT) | instid1(VALU_DEP_1)
	v_cndmask_b32_e64 v1, v1, v2, s4
	v_add_f32_e32 v2, v7, v1
	s_delay_alu instid0(VALU_DEP_1) | instskip(NEXT) | instid1(VALU_DEP_1)
	v_cndmask_b32_e64 v1, v1, v2, s5
	;; [unrolled: 3-line block ×25, first 2 shown]
	v_add_f32_e32 v2, v31, v1
	s_delay_alu instid0(VALU_DEP_1) | instskip(SKIP_1) | instid1(VALU_DEP_2)
	v_cndmask_b32_e64 v1, v1, v2, s29
	v_mbcnt_lo_u32_b32 v2, -1, 0
	v_add_f32_e32 v3, v32, v1
	s_delay_alu instid0(VALU_DEP_2) | instskip(SKIP_2) | instid1(VALU_DEP_4)
	v_cmp_ne_u32_e32 vcc_lo, 31, v2
	v_add_nc_u32_e32 v6, 1, v2
	v_cmp_gt_u32_e64 s2, 28, v2
	v_dual_add_nc_u32 v7, 2, v2 :: v_dual_cndmask_b32 v1, v1, v3, s30
	v_add_co_ci_u32_e64 v3, null, 0, v2, vcc_lo
	v_cmp_gt_u32_e32 vcc_lo, 30, v2
	s_delay_alu instid0(VALU_DEP_2) | instskip(SKIP_1) | instid1(VALU_DEP_2)
	v_dual_add_f32 v4, v33, v1 :: v_dual_lshlrev_b32 v3, 2, v3
	v_cndmask_b32_e64 v5, 0, 2, vcc_lo
	v_cndmask_b32_e64 v1, v1, v4, s31
	v_and_b32_e32 v4, 0xe0, v0
	s_delay_alu instid0(VALU_DEP_3) | instskip(SKIP_2) | instid1(VALU_DEP_1)
	v_add_lshl_u32 v5, v5, v2, 2
	ds_bpermute_b32 v3, v3, v1
	v_sub_nc_u32_e64 v4, s3, v4 clamp
	v_cmp_lt_u32_e32 vcc_lo, v6, v4
	v_cndmask_b32_e64 v6, 0, 4, s2
	v_cmp_lt_u32_e64 s2, v7, v4
	v_add_nc_u32_e32 v7, 4, v2
	s_delay_alu instid0(VALU_DEP_3) | instskip(SKIP_2) | instid1(VALU_DEP_1)
	v_add_lshl_u32 v6, v6, v2, 2
	s_wait_dscnt 0x0
	v_add_f32_e32 v3, v1, v3
	v_cndmask_b32_e32 v3, v1, v3, vcc_lo
	ds_bpermute_b32 v5, v5, v3
	s_wait_dscnt 0x0
	v_add_f32_e32 v5, v3, v5
	s_delay_alu instid0(VALU_DEP_1)
	v_cndmask_b32_e64 v3, v3, v5, s2
	v_cmp_gt_u32_e64 s2, 24, v2
	ds_bpermute_b32 v5, v6, v3
	v_cndmask_b32_e64 v6, 0, 8, s2
	v_cmp_lt_u32_e64 s2, v7, v4
	v_add_nc_u32_e32 v7, 8, v2
	s_delay_alu instid0(VALU_DEP_3) | instskip(SKIP_2) | instid1(VALU_DEP_1)
	v_add_lshl_u32 v6, v6, v2, 2
	s_wait_dscnt 0x0
	v_add_f32_e32 v5, v3, v5
	v_dual_cndmask_b32 v5, v3, v5, s2 :: v_dual_lshlrev_b32 v3, 2, v2
	v_cmp_lt_u32_e64 s2, v7, v4
	v_add_nc_u32_e32 v7, 16, v2
	ds_bpermute_b32 v6, v6, v5
	s_wait_dscnt 0x0
	v_dual_add_f32 v6, v5, v6 :: v_dual_bitop2_b32 v8, 64, v3 bitop3:0x54
	s_delay_alu instid0(VALU_DEP_1) | instskip(SKIP_4) | instid1(VALU_DEP_1)
	v_cndmask_b32_e64 v5, v5, v6, s2
	v_cmp_lt_u32_e64 s2, v7, v4
	ds_bpermute_b32 v6, v8, v5
	s_wait_dscnt 0x0
	v_add_f32_e32 v6, v5, v6
	v_cndmask_b32_e64 v4, v5, v6, s2
	s_mov_b32 s2, exec_lo
	s_delay_alu instid0(VALU_DEP_1)
	v_cndmask_b32_e32 v1, v1, v4, vcc_lo
	v_cmpx_eq_u32_e32 0, v2
; %bb.89:
	v_lshrrev_b32_e32 v4, 3, v0
	s_delay_alu instid0(VALU_DEP_1)
	v_and_b32_e32 v4, 28, v4
	ds_store_b32 v4, v1 offset:192
; %bb.90:
	s_or_b32 exec_lo, exec_lo, s2
	s_delay_alu instid0(SALU_CYCLE_1)
	s_mov_b32 s4, exec_lo
	s_wait_dscnt 0x0
	s_barrier_signal -1
	s_barrier_wait -1
	v_cmpx_gt_u32_e32 8, v0
	s_cbranch_execz .LBB9_92
; %bb.91:
	ds_load_b32 v1, v3 offset:192
	v_and_b32_e32 v4, 7, v2
	s_add_co_i32 s3, s3, 31
	v_or_b32_e32 v3, 16, v3
	s_lshr_b32 s3, s3, 5
	s_delay_alu instid0(VALU_DEP_2) | instskip(SKIP_1) | instid1(VALU_DEP_1)
	v_cmp_ne_u32_e32 vcc_lo, 7, v4
	v_add_co_ci_u32_e64 v5, null, 0, v2, vcc_lo
	v_lshlrev_b32_e32 v5, 2, v5
	v_cmp_gt_u32_e32 vcc_lo, 6, v4
	s_wait_dscnt 0x0
	ds_bpermute_b32 v5, v5, v1
	v_add_nc_u32_e32 v7, 1, v4
	v_cndmask_b32_e64 v6, 0, 2, vcc_lo
	s_delay_alu instid0(VALU_DEP_1) | instskip(SKIP_1) | instid1(VALU_DEP_1)
	v_add_lshl_u32 v2, v6, v2, 2
	v_dual_add_nc_u32 v6, 2, v4 :: v_dual_add_nc_u32 v4, 4, v4
	v_cmp_gt_u32_e64 s2, s3, v6
	s_wait_dscnt 0x0
	v_add_f32_e32 v5, v1, v5
	v_cmp_gt_u32_e32 vcc_lo, s3, v7
	s_delay_alu instid0(VALU_DEP_2) | instskip(SKIP_3) | instid1(VALU_DEP_1)
	v_cndmask_b32_e32 v5, v1, v5, vcc_lo
	ds_bpermute_b32 v2, v2, v5
	s_wait_dscnt 0x0
	v_add_f32_e32 v2, v5, v2
	v_cndmask_b32_e64 v2, v5, v2, s2
	v_cmp_gt_u32_e64 s2, s3, v4
	ds_bpermute_b32 v3, v3, v2
	s_wait_dscnt 0x0
	v_add_f32_e32 v3, v2, v3
	s_delay_alu instid0(VALU_DEP_1) | instskip(NEXT) | instid1(VALU_DEP_1)
	v_cndmask_b32_e64 v2, v2, v3, s2
	v_cndmask_b32_e32 v1, v1, v2, vcc_lo
.LBB9_92:
	s_or_b32 exec_lo, exec_lo, s4
	v_cmp_eq_u32_e64 s2, 0, v0
	s_and_b32 vcc_lo, exec_lo, s42
	s_cbranch_vccnz .LBB9_15
.LBB9_93:
	s_branch .LBB9_142
.LBB9_94:
	s_mov_b32 s3, -1
                                        ; implicit-def: $vgpr1
.LBB9_95:
	s_delay_alu instid0(SALU_CYCLE_1)
	s_and_b32 vcc_lo, exec_lo, s3
	s_cbranch_vccz .LBB9_133
; %bb.96:
	v_mov_b32_e32 v2, 0
	s_sub_co_i32 s18, s38, s2
	s_mov_b32 s2, exec_lo
	s_delay_alu instid0(VALU_DEP_1)
	v_dual_mov_b32 v3, v2 :: v_dual_mov_b32 v4, v2
	v_dual_mov_b32 v5, v2 :: v_dual_mov_b32 v6, v2
	;; [unrolled: 1-line block ×7, first 2 shown]
	v_mov_b32_e32 v17, v2
	v_cmpx_gt_u32_e64 s18, v0
	s_cbranch_execz .LBB9_98
; %bb.97:
	global_load_b32 v4, v0, s[16:17] scale_offset
	v_dual_mov_b32 v5, v2 :: v_dual_mov_b32 v6, v2
	v_dual_mov_b32 v17, v2 :: v_dual_mov_b32 v18, v2
	;; [unrolled: 1-line block ×7, first 2 shown]
	v_mov_b32_e32 v16, v2
	s_wait_loadcnt 0x0
	v_mov_b64_e32 v[2:3], v[4:5]
	v_mov_b64_e32 v[4:5], v[6:7]
	;; [unrolled: 1-line block ×8, first 2 shown]
.LBB9_98:
	s_or_b32 exec_lo, exec_lo, s2
	v_or_b32_e32 v1, 0x100, v0
	s_delay_alu instid0(VALU_DEP_1)
	v_cmp_gt_u32_e32 vcc_lo, s18, v1
	s_and_saveexec_b32 s2, vcc_lo
	s_cbranch_execz .LBB9_100
; %bb.99:
	global_load_b32 v3, v0, s[16:17] offset:1024 scale_offset
.LBB9_100:
	s_wait_xcnt 0x0
	s_or_b32 exec_lo, exec_lo, s2
	v_or_b32_e32 v1, 0x200, v0
	s_delay_alu instid0(VALU_DEP_1)
	v_cmp_gt_u32_e64 s2, s18, v1
	s_and_saveexec_b32 s3, s2
	s_cbranch_execz .LBB9_102
; %bb.101:
	global_load_b32 v4, v0, s[16:17] offset:2048 scale_offset
.LBB9_102:
	s_wait_xcnt 0x0
	s_or_b32 exec_lo, exec_lo, s3
	v_or_b32_e32 v1, 0x300, v0
	s_delay_alu instid0(VALU_DEP_1)
	v_cmp_gt_u32_e64 s3, s18, v1
	s_and_saveexec_b32 s4, s3
	;; [unrolled: 10-line block ×14, first 2 shown]
	s_cbranch_execz .LBB9_128
; %bb.127:
	global_load_b32 v17, v0, s[16:17] offset:15360 scale_offset
.LBB9_128:
	s_wait_xcnt 0x0
	s_or_b32 exec_lo, exec_lo, s19
	s_wait_loadcnt 0x0
	v_add_f32_e32 v1, v2, v3
	s_delay_alu instid0(VALU_DEP_1) | instskip(NEXT) | instid1(VALU_DEP_1)
	v_cndmask_b32_e32 v1, v2, v1, vcc_lo
	v_add_f32_e32 v2, v4, v1
	s_delay_alu instid0(VALU_DEP_1) | instskip(NEXT) | instid1(VALU_DEP_1)
	v_cndmask_b32_e64 v1, v1, v2, s2
	v_add_f32_e32 v2, v5, v1
	s_delay_alu instid0(VALU_DEP_1) | instskip(SKIP_1) | instid1(VALU_DEP_1)
	v_cndmask_b32_e64 v1, v1, v2, s3
	s_min_u32 s3, s18, 0x100
	v_add_f32_e32 v2, v6, v1
	s_delay_alu instid0(VALU_DEP_1) | instskip(NEXT) | instid1(VALU_DEP_1)
	v_cndmask_b32_e64 v1, v1, v2, s4
	v_add_f32_e32 v2, v7, v1
	s_delay_alu instid0(VALU_DEP_1) | instskip(NEXT) | instid1(VALU_DEP_1)
	v_cndmask_b32_e64 v1, v1, v2, s5
	;; [unrolled: 3-line block ×9, first 2 shown]
	v_add_f32_e32 v2, v15, v1
	s_delay_alu instid0(VALU_DEP_1) | instskip(SKIP_1) | instid1(VALU_DEP_2)
	v_cndmask_b32_e64 v1, v1, v2, s13
	v_mbcnt_lo_u32_b32 v2, -1, 0
	v_add_f32_e32 v3, v16, v1
	s_delay_alu instid0(VALU_DEP_2) | instskip(SKIP_2) | instid1(VALU_DEP_4)
	v_cmp_ne_u32_e32 vcc_lo, 31, v2
	v_add_nc_u32_e32 v6, 1, v2
	v_cmp_gt_u32_e64 s2, 28, v2
	v_dual_add_nc_u32 v7, 2, v2 :: v_dual_cndmask_b32 v1, v1, v3, s14
	v_add_co_ci_u32_e64 v3, null, 0, v2, vcc_lo
	v_cmp_gt_u32_e32 vcc_lo, 30, v2
	s_delay_alu instid0(VALU_DEP_2) | instskip(SKIP_1) | instid1(VALU_DEP_2)
	v_dual_add_f32 v4, v17, v1 :: v_dual_lshlrev_b32 v3, 2, v3
	v_cndmask_b32_e64 v5, 0, 2, vcc_lo
	v_cndmask_b32_e64 v1, v1, v4, s15
	v_and_b32_e32 v4, 0xe0, v0
	s_delay_alu instid0(VALU_DEP_3) | instskip(SKIP_2) | instid1(VALU_DEP_1)
	v_add_lshl_u32 v5, v5, v2, 2
	ds_bpermute_b32 v3, v3, v1
	v_sub_nc_u32_e64 v4, s3, v4 clamp
	v_cmp_lt_u32_e32 vcc_lo, v6, v4
	v_cndmask_b32_e64 v6, 0, 4, s2
	v_cmp_lt_u32_e64 s2, v7, v4
	v_add_nc_u32_e32 v7, 4, v2
	s_delay_alu instid0(VALU_DEP_3) | instskip(SKIP_2) | instid1(VALU_DEP_1)
	v_add_lshl_u32 v6, v6, v2, 2
	s_wait_dscnt 0x0
	v_add_f32_e32 v3, v1, v3
	v_cndmask_b32_e32 v3, v1, v3, vcc_lo
	ds_bpermute_b32 v5, v5, v3
	s_wait_dscnt 0x0
	v_add_f32_e32 v5, v3, v5
	s_delay_alu instid0(VALU_DEP_1)
	v_cndmask_b32_e64 v3, v3, v5, s2
	v_cmp_gt_u32_e64 s2, 24, v2
	ds_bpermute_b32 v5, v6, v3
	v_cndmask_b32_e64 v6, 0, 8, s2
	v_cmp_lt_u32_e64 s2, v7, v4
	v_add_nc_u32_e32 v7, 8, v2
	s_delay_alu instid0(VALU_DEP_3) | instskip(SKIP_2) | instid1(VALU_DEP_1)
	v_add_lshl_u32 v6, v6, v2, 2
	s_wait_dscnt 0x0
	v_add_f32_e32 v5, v3, v5
	v_dual_cndmask_b32 v5, v3, v5, s2 :: v_dual_lshlrev_b32 v3, 2, v2
	v_cmp_lt_u32_e64 s2, v7, v4
	v_add_nc_u32_e32 v7, 16, v2
	ds_bpermute_b32 v6, v6, v5
	s_wait_dscnt 0x0
	v_dual_add_f32 v6, v5, v6 :: v_dual_bitop2_b32 v8, 64, v3 bitop3:0x54
	s_delay_alu instid0(VALU_DEP_1) | instskip(SKIP_4) | instid1(VALU_DEP_1)
	v_cndmask_b32_e64 v5, v5, v6, s2
	v_cmp_lt_u32_e64 s2, v7, v4
	ds_bpermute_b32 v6, v8, v5
	s_wait_dscnt 0x0
	v_add_f32_e32 v6, v5, v6
	v_cndmask_b32_e64 v4, v5, v6, s2
	s_mov_b32 s2, exec_lo
	s_delay_alu instid0(VALU_DEP_1)
	v_cndmask_b32_e32 v1, v1, v4, vcc_lo
	v_cmpx_eq_u32_e32 0, v2
; %bb.129:
	v_lshrrev_b32_e32 v4, 3, v0
	s_delay_alu instid0(VALU_DEP_1)
	v_and_b32_e32 v4, 28, v4
	ds_store_b32 v4, v1 offset:192
; %bb.130:
	s_or_b32 exec_lo, exec_lo, s2
	s_delay_alu instid0(SALU_CYCLE_1)
	s_mov_b32 s4, exec_lo
	s_wait_dscnt 0x0
	s_barrier_signal -1
	s_barrier_wait -1
	v_cmpx_gt_u32_e32 8, v0
	s_cbranch_execz .LBB9_132
; %bb.131:
	ds_load_b32 v1, v3 offset:192
	v_and_b32_e32 v4, 7, v2
	s_add_co_i32 s3, s3, 31
	v_or_b32_e32 v3, 16, v3
	s_lshr_b32 s3, s3, 5
	s_delay_alu instid0(VALU_DEP_2) | instskip(SKIP_1) | instid1(VALU_DEP_1)
	v_cmp_ne_u32_e32 vcc_lo, 7, v4
	v_add_co_ci_u32_e64 v5, null, 0, v2, vcc_lo
	v_lshlrev_b32_e32 v5, 2, v5
	v_cmp_gt_u32_e32 vcc_lo, 6, v4
	s_wait_dscnt 0x0
	ds_bpermute_b32 v5, v5, v1
	v_add_nc_u32_e32 v7, 1, v4
	v_cndmask_b32_e64 v6, 0, 2, vcc_lo
	s_delay_alu instid0(VALU_DEP_1) | instskip(SKIP_1) | instid1(VALU_DEP_1)
	v_add_lshl_u32 v2, v6, v2, 2
	v_dual_add_nc_u32 v6, 2, v4 :: v_dual_add_nc_u32 v4, 4, v4
	v_cmp_gt_u32_e64 s2, s3, v6
	s_wait_dscnt 0x0
	v_add_f32_e32 v5, v1, v5
	v_cmp_gt_u32_e32 vcc_lo, s3, v7
	s_delay_alu instid0(VALU_DEP_2) | instskip(SKIP_3) | instid1(VALU_DEP_1)
	v_cndmask_b32_e32 v5, v1, v5, vcc_lo
	ds_bpermute_b32 v2, v2, v5
	s_wait_dscnt 0x0
	v_add_f32_e32 v2, v5, v2
	v_cndmask_b32_e64 v2, v5, v2, s2
	v_cmp_gt_u32_e64 s2, s3, v4
	ds_bpermute_b32 v3, v3, v2
	s_wait_dscnt 0x0
	v_add_f32_e32 v3, v2, v3
	s_delay_alu instid0(VALU_DEP_1) | instskip(NEXT) | instid1(VALU_DEP_1)
	v_cndmask_b32_e64 v2, v2, v3, s2
	v_cndmask_b32_e32 v1, v1, v2, vcc_lo
.LBB9_132:
	s_or_b32 exec_lo, exec_lo, s4
.LBB9_133:
	v_cmp_eq_u32_e64 s2, 0, v0
	s_branch .LBB9_142
.LBB9_134:
	s_cmp_eq_u32 s33, 8
	s_cbranch_scc0 .LBB9_141
; %bb.135:
	s_bfe_u32 s2, ttmp6, 0x4000c
	s_and_b32 s3, ttmp6, 15
	s_add_co_i32 s2, s2, 1
	s_getreg_b32 s4, hwreg(HW_REG_IB_STS2, 6, 4)
	s_mul_i32 s2, ttmp9, s2
	s_mov_b32 s35, 0
	s_add_co_i32 s3, s3, s2
	s_cmp_eq_u32 s4, 0
	s_cselect_b32 s34, ttmp9, s3
	s_mov_b32 s3, s35
	s_lshl_b32 s2, s34, 11
	s_lshr_b64 s[4:5], s[38:39], 11
	s_lshl_b64 s[6:7], s[2:3], 2
	s_cmp_lg_u64 s[4:5], s[34:35]
	s_add_nc_u64 s[8:9], s[36:37], s[6:7]
	s_cbranch_scc0 .LBB9_143
; %bb.136:
	s_clause 0x7
	global_load_b32 v1, v0, s[8:9] scale_offset
	global_load_b32 v2, v0, s[8:9] offset:1024 scale_offset
	global_load_b32 v3, v0, s[8:9] offset:2048 scale_offset
	;; [unrolled: 1-line block ×7, first 2 shown]
	s_mov_b32 s3, exec_lo
	s_wait_loadcnt 0x6
	v_add_f32_e32 v1, v1, v2
	s_wait_loadcnt 0x5
	s_delay_alu instid0(VALU_DEP_1) | instskip(SKIP_1) | instid1(VALU_DEP_1)
	v_add_f32_e32 v1, v1, v3
	s_wait_loadcnt 0x4
	v_add_f32_e32 v1, v1, v4
	s_wait_loadcnt 0x3
	s_delay_alu instid0(VALU_DEP_1) | instskip(SKIP_1) | instid1(VALU_DEP_1)
	v_add_f32_e32 v1, v1, v5
	s_wait_loadcnt 0x2
	v_add_f32_e32 v1, v1, v6
	s_wait_loadcnt 0x1
	s_delay_alu instid0(VALU_DEP_1) | instskip(SKIP_1) | instid1(VALU_DEP_1)
	v_add_f32_e32 v1, v1, v7
	s_wait_loadcnt 0x0
	v_add_f32_e32 v1, v1, v8
	s_delay_alu instid0(VALU_DEP_1) | instskip(NEXT) | instid1(VALU_DEP_1)
	v_mov_b32_dpp v2, v1 quad_perm:[1,0,3,2] row_mask:0xf bank_mask:0xf
	v_add_f32_e32 v1, v1, v2
	s_delay_alu instid0(VALU_DEP_1) | instskip(NEXT) | instid1(VALU_DEP_1)
	v_mov_b32_dpp v2, v1 quad_perm:[2,3,0,1] row_mask:0xf bank_mask:0xf
	v_add_f32_e32 v1, v1, v2
	s_delay_alu instid0(VALU_DEP_1) | instskip(NEXT) | instid1(VALU_DEP_1)
	v_mov_b32_dpp v2, v1 row_ror:4 row_mask:0xf bank_mask:0xf
	v_add_f32_e32 v1, v1, v2
	s_delay_alu instid0(VALU_DEP_1) | instskip(NEXT) | instid1(VALU_DEP_1)
	v_mov_b32_dpp v2, v1 row_ror:8 row_mask:0xf bank_mask:0xf
	v_add_f32_e32 v1, v1, v2
	ds_swizzle_b32 v2, v1 offset:swizzle(BROADCAST,32,15)
	s_wait_dscnt 0x0
	v_dual_add_f32 v1, v1, v2 :: v_dual_mov_b32 v2, 0
	ds_bpermute_b32 v1, v2, v1 offset:124
	v_mbcnt_lo_u32_b32 v2, -1, 0
	s_delay_alu instid0(VALU_DEP_1)
	v_cmpx_eq_u32_e32 0, v2
	s_cbranch_execz .LBB9_138
; %bb.137:
	v_lshrrev_b32_e32 v3, 3, v0
	s_delay_alu instid0(VALU_DEP_1)
	v_and_b32_e32 v3, 28, v3
	s_wait_dscnt 0x0
	ds_store_b32 v3, v1 offset:160
.LBB9_138:
	s_or_b32 exec_lo, exec_lo, s3
	s_delay_alu instid0(SALU_CYCLE_1)
	s_mov_b32 s3, exec_lo
	s_wait_dscnt 0x0
	s_barrier_signal -1
	s_barrier_wait -1
	v_cmpx_gt_u32_e32 32, v0
	s_cbranch_execz .LBB9_140
; %bb.139:
	v_and_b32_e32 v1, 7, v2
	s_delay_alu instid0(VALU_DEP_1) | instskip(SKIP_1) | instid1(VALU_DEP_1)
	v_cmp_ne_u32_e32 vcc_lo, 7, v1
	v_add_co_ci_u32_e64 v4, null, 0, v2, vcc_lo
	v_lshlrev_b32_e32 v4, 2, v4
	v_cmp_gt_u32_e32 vcc_lo, 6, v1
	v_lshlrev_b32_e32 v3, 2, v1
	v_cndmask_b32_e64 v1, 0, 2, vcc_lo
	s_delay_alu instid0(VALU_DEP_1)
	v_add_lshl_u32 v1, v1, v2, 2
	v_lshlrev_b32_e32 v2, 2, v2
	ds_load_b32 v3, v3 offset:160
	v_or_b32_e32 v2, 16, v2
	s_wait_dscnt 0x0
	ds_bpermute_b32 v4, v4, v3
	s_wait_dscnt 0x0
	v_add_f32_e32 v3, v3, v4
	ds_bpermute_b32 v1, v1, v3
	s_wait_dscnt 0x0
	v_add_f32_e32 v1, v3, v1
	;; [unrolled: 3-line block ×3, first 2 shown]
.LBB9_140:
	s_or_b32 exec_lo, exec_lo, s3
	s_branch .LBB9_165
.LBB9_141:
                                        ; implicit-def: $vgpr1
                                        ; implicit-def: $sgpr34_sgpr35
.LBB9_142:
	s_branch .LBB9_224
.LBB9_143:
                                        ; implicit-def: $vgpr1
	s_cbranch_execz .LBB9_165
; %bb.144:
	v_mov_b32_e32 v2, 0
	s_sub_co_i32 s10, s38, s2
	s_mov_b32 s2, exec_lo
	s_delay_alu instid0(VALU_DEP_1)
	v_dual_mov_b32 v3, v2 :: v_dual_mov_b32 v4, v2
	v_dual_mov_b32 v5, v2 :: v_dual_mov_b32 v6, v2
	;; [unrolled: 1-line block ×3, first 2 shown]
	v_mov_b32_e32 v9, v2
	v_cmpx_gt_u32_e64 s10, v0
	s_cbranch_execz .LBB9_146
; %bb.145:
	global_load_b32 v4, v0, s[8:9] scale_offset
	v_dual_mov_b32 v5, v2 :: v_dual_mov_b32 v6, v2
	v_dual_mov_b32 v9, v2 :: v_dual_mov_b32 v10, v2
	;; [unrolled: 1-line block ×3, first 2 shown]
	v_mov_b32_e32 v8, v2
	s_wait_loadcnt 0x0
	v_mov_b64_e32 v[2:3], v[4:5]
	s_delay_alu instid0(VALU_DEP_3) | instskip(NEXT) | instid1(VALU_DEP_3)
	v_mov_b64_e32 v[4:5], v[6:7]
	v_mov_b64_e32 v[6:7], v[8:9]
	;; [unrolled: 1-line block ×3, first 2 shown]
.LBB9_146:
	s_or_b32 exec_lo, exec_lo, s2
	v_or_b32_e32 v1, 0x100, v0
	s_delay_alu instid0(VALU_DEP_1)
	v_cmp_gt_u32_e32 vcc_lo, s10, v1
	s_and_saveexec_b32 s2, vcc_lo
	s_cbranch_execz .LBB9_148
; %bb.147:
	global_load_b32 v3, v0, s[8:9] offset:1024 scale_offset
.LBB9_148:
	s_wait_xcnt 0x0
	s_or_b32 exec_lo, exec_lo, s2
	v_or_b32_e32 v1, 0x200, v0
	s_delay_alu instid0(VALU_DEP_1)
	v_cmp_gt_u32_e64 s2, s10, v1
	s_and_saveexec_b32 s3, s2
	s_cbranch_execz .LBB9_150
; %bb.149:
	global_load_b32 v4, v0, s[8:9] offset:2048 scale_offset
.LBB9_150:
	s_wait_xcnt 0x0
	s_or_b32 exec_lo, exec_lo, s3
	v_or_b32_e32 v1, 0x300, v0
	s_delay_alu instid0(VALU_DEP_1)
	v_cmp_gt_u32_e64 s3, s10, v1
	s_and_saveexec_b32 s4, s3
	;; [unrolled: 10-line block ×6, first 2 shown]
	s_cbranch_execz .LBB9_160
; %bb.159:
	global_load_b32 v9, v0, s[8:9] offset:7168 scale_offset
.LBB9_160:
	s_wait_xcnt 0x0
	s_or_b32 exec_lo, exec_lo, s11
	s_wait_loadcnt 0x0
	v_add_f32_e32 v1, v2, v3
	s_delay_alu instid0(VALU_DEP_1) | instskip(NEXT) | instid1(VALU_DEP_1)
	v_cndmask_b32_e32 v1, v2, v1, vcc_lo
	v_add_f32_e32 v2, v4, v1
	s_delay_alu instid0(VALU_DEP_1) | instskip(NEXT) | instid1(VALU_DEP_1)
	v_cndmask_b32_e64 v1, v1, v2, s2
	v_add_f32_e32 v2, v5, v1
	s_delay_alu instid0(VALU_DEP_1) | instskip(SKIP_1) | instid1(VALU_DEP_1)
	v_cndmask_b32_e64 v1, v1, v2, s3
	s_min_u32 s3, s10, 0x100
	v_add_f32_e32 v2, v6, v1
	s_delay_alu instid0(VALU_DEP_1) | instskip(NEXT) | instid1(VALU_DEP_1)
	v_cndmask_b32_e64 v1, v1, v2, s4
	v_add_f32_e32 v2, v7, v1
	s_delay_alu instid0(VALU_DEP_1) | instskip(SKIP_1) | instid1(VALU_DEP_2)
	v_cndmask_b32_e64 v1, v1, v2, s5
	v_mbcnt_lo_u32_b32 v2, -1, 0
	v_add_f32_e32 v3, v8, v1
	s_delay_alu instid0(VALU_DEP_2) | instskip(SKIP_2) | instid1(VALU_DEP_4)
	v_cmp_ne_u32_e32 vcc_lo, 31, v2
	v_add_nc_u32_e32 v6, 1, v2
	v_cmp_gt_u32_e64 s2, 28, v2
	v_dual_add_nc_u32 v7, 2, v2 :: v_dual_cndmask_b32 v1, v1, v3, s6
	v_add_co_ci_u32_e64 v3, null, 0, v2, vcc_lo
	v_cmp_gt_u32_e32 vcc_lo, 30, v2
	s_delay_alu instid0(VALU_DEP_2) | instskip(SKIP_1) | instid1(VALU_DEP_2)
	v_dual_add_f32 v4, v9, v1 :: v_dual_lshlrev_b32 v3, 2, v3
	v_cndmask_b32_e64 v5, 0, 2, vcc_lo
	v_cndmask_b32_e64 v1, v1, v4, s7
	v_and_b32_e32 v4, 0xe0, v0
	s_delay_alu instid0(VALU_DEP_3) | instskip(SKIP_2) | instid1(VALU_DEP_1)
	v_add_lshl_u32 v5, v5, v2, 2
	ds_bpermute_b32 v3, v3, v1
	v_sub_nc_u32_e64 v4, s3, v4 clamp
	v_cmp_lt_u32_e32 vcc_lo, v6, v4
	v_cndmask_b32_e64 v6, 0, 4, s2
	v_cmp_lt_u32_e64 s2, v7, v4
	v_add_nc_u32_e32 v7, 4, v2
	s_delay_alu instid0(VALU_DEP_3) | instskip(SKIP_2) | instid1(VALU_DEP_1)
	v_add_lshl_u32 v6, v6, v2, 2
	s_wait_dscnt 0x0
	v_add_f32_e32 v3, v1, v3
	v_cndmask_b32_e32 v3, v1, v3, vcc_lo
	ds_bpermute_b32 v5, v5, v3
	s_wait_dscnt 0x0
	v_add_f32_e32 v5, v3, v5
	s_delay_alu instid0(VALU_DEP_1)
	v_cndmask_b32_e64 v3, v3, v5, s2
	v_cmp_gt_u32_e64 s2, 24, v2
	ds_bpermute_b32 v5, v6, v3
	v_cndmask_b32_e64 v6, 0, 8, s2
	v_cmp_lt_u32_e64 s2, v7, v4
	v_add_nc_u32_e32 v7, 8, v2
	s_delay_alu instid0(VALU_DEP_3) | instskip(SKIP_2) | instid1(VALU_DEP_1)
	v_add_lshl_u32 v6, v6, v2, 2
	s_wait_dscnt 0x0
	v_add_f32_e32 v5, v3, v5
	v_dual_cndmask_b32 v5, v3, v5, s2 :: v_dual_lshlrev_b32 v3, 2, v2
	v_cmp_lt_u32_e64 s2, v7, v4
	s_delay_alu instid0(VALU_DEP_2) | instskip(SKIP_3) | instid1(VALU_DEP_1)
	v_dual_add_nc_u32 v7, 16, v2 :: v_dual_bitop2_b32 v8, 64, v3 bitop3:0x54
	ds_bpermute_b32 v6, v6, v5
	s_wait_dscnt 0x0
	v_add_f32_e32 v6, v5, v6
	v_cndmask_b32_e64 v5, v5, v6, s2
	v_cmp_lt_u32_e64 s2, v7, v4
	ds_bpermute_b32 v6, v8, v5
	s_wait_dscnt 0x0
	v_add_f32_e32 v6, v5, v6
	s_delay_alu instid0(VALU_DEP_1) | instskip(SKIP_1) | instid1(VALU_DEP_1)
	v_cndmask_b32_e64 v4, v5, v6, s2
	s_mov_b32 s2, exec_lo
	v_cndmask_b32_e32 v1, v1, v4, vcc_lo
	v_cmpx_eq_u32_e32 0, v2
; %bb.161:
	v_lshrrev_b32_e32 v4, 3, v0
	s_delay_alu instid0(VALU_DEP_1)
	v_and_b32_e32 v4, 28, v4
	ds_store_b32 v4, v1 offset:192
; %bb.162:
	s_or_b32 exec_lo, exec_lo, s2
	s_delay_alu instid0(SALU_CYCLE_1)
	s_mov_b32 s4, exec_lo
	s_wait_dscnt 0x0
	s_barrier_signal -1
	s_barrier_wait -1
	v_cmpx_gt_u32_e32 8, v0
	s_cbranch_execz .LBB9_164
; %bb.163:
	ds_load_b32 v1, v3 offset:192
	v_and_b32_e32 v4, 7, v2
	s_add_co_i32 s3, s3, 31
	v_or_b32_e32 v3, 16, v3
	s_lshr_b32 s3, s3, 5
	s_delay_alu instid0(VALU_DEP_2) | instskip(SKIP_1) | instid1(VALU_DEP_1)
	v_cmp_ne_u32_e32 vcc_lo, 7, v4
	v_add_co_ci_u32_e64 v5, null, 0, v2, vcc_lo
	v_lshlrev_b32_e32 v5, 2, v5
	v_cmp_gt_u32_e32 vcc_lo, 6, v4
	s_wait_dscnt 0x0
	ds_bpermute_b32 v5, v5, v1
	v_add_nc_u32_e32 v7, 1, v4
	v_cndmask_b32_e64 v6, 0, 2, vcc_lo
	s_delay_alu instid0(VALU_DEP_1) | instskip(SKIP_1) | instid1(VALU_DEP_1)
	v_add_lshl_u32 v2, v6, v2, 2
	v_dual_add_nc_u32 v6, 2, v4 :: v_dual_add_nc_u32 v4, 4, v4
	v_cmp_gt_u32_e64 s2, s3, v6
	s_wait_dscnt 0x0
	v_add_f32_e32 v5, v1, v5
	v_cmp_gt_u32_e32 vcc_lo, s3, v7
	s_delay_alu instid0(VALU_DEP_2) | instskip(SKIP_3) | instid1(VALU_DEP_1)
	v_cndmask_b32_e32 v5, v1, v5, vcc_lo
	ds_bpermute_b32 v2, v2, v5
	s_wait_dscnt 0x0
	v_add_f32_e32 v2, v5, v2
	v_cndmask_b32_e64 v2, v5, v2, s2
	v_cmp_gt_u32_e64 s2, s3, v4
	ds_bpermute_b32 v3, v3, v2
	s_wait_dscnt 0x0
	v_add_f32_e32 v3, v2, v3
	s_delay_alu instid0(VALU_DEP_1) | instskip(NEXT) | instid1(VALU_DEP_1)
	v_cndmask_b32_e64 v2, v2, v3, s2
	v_cndmask_b32_e32 v1, v1, v2, vcc_lo
.LBB9_164:
	s_or_b32 exec_lo, exec_lo, s4
.LBB9_165:
	v_cmp_eq_u32_e64 s2, 0, v0
	s_branch .LBB9_224
.LBB9_166:
	s_cmp_gt_i32 s33, 1
	s_cbranch_scc0 .LBB9_175
; %bb.167:
	s_cmp_gt_i32 s33, 3
	s_cbranch_scc0 .LBB9_176
; %bb.168:
	s_cmp_eq_u32 s33, 4
	s_cbranch_scc0 .LBB9_177
; %bb.169:
	s_bfe_u32 s2, ttmp6, 0x4000c
	s_and_b32 s3, ttmp6, 15
	s_add_co_i32 s2, s2, 1
	s_getreg_b32 s4, hwreg(HW_REG_IB_STS2, 6, 4)
	s_mul_i32 s2, ttmp9, s2
	s_mov_b32 s35, 0
	s_add_co_i32 s3, s3, s2
	s_cmp_eq_u32 s4, 0
	s_cselect_b32 s34, ttmp9, s3
	s_mov_b32 s3, s35
	s_lshl_b32 s2, s34, 10
	s_lshr_b64 s[4:5], s[38:39], 10
	s_lshl_b64 s[6:7], s[2:3], 2
	s_cmp_lg_u64 s[4:5], s[34:35]
	s_add_nc_u64 s[4:5], s[36:37], s[6:7]
	s_cbranch_scc0 .LBB9_179
; %bb.170:
	s_clause 0x3
	global_load_b32 v1, v0, s[4:5] scale_offset
	global_load_b32 v2, v0, s[4:5] offset:1024 scale_offset
	global_load_b32 v3, v0, s[4:5] offset:2048 scale_offset
	;; [unrolled: 1-line block ×3, first 2 shown]
	s_mov_b32 s3, exec_lo
	s_wait_loadcnt 0x2
	v_add_f32_e32 v1, v1, v2
	s_wait_loadcnt 0x1
	s_delay_alu instid0(VALU_DEP_1) | instskip(SKIP_1) | instid1(VALU_DEP_1)
	v_add_f32_e32 v1, v1, v3
	s_wait_loadcnt 0x0
	v_add_f32_e32 v1, v1, v4
	s_delay_alu instid0(VALU_DEP_1) | instskip(NEXT) | instid1(VALU_DEP_1)
	v_mov_b32_dpp v2, v1 quad_perm:[1,0,3,2] row_mask:0xf bank_mask:0xf
	v_add_f32_e32 v1, v1, v2
	s_delay_alu instid0(VALU_DEP_1) | instskip(NEXT) | instid1(VALU_DEP_1)
	v_mov_b32_dpp v2, v1 quad_perm:[2,3,0,1] row_mask:0xf bank_mask:0xf
	v_add_f32_e32 v1, v1, v2
	s_delay_alu instid0(VALU_DEP_1) | instskip(NEXT) | instid1(VALU_DEP_1)
	v_mov_b32_dpp v2, v1 row_ror:4 row_mask:0xf bank_mask:0xf
	v_add_f32_e32 v1, v1, v2
	s_delay_alu instid0(VALU_DEP_1) | instskip(NEXT) | instid1(VALU_DEP_1)
	v_mov_b32_dpp v2, v1 row_ror:8 row_mask:0xf bank_mask:0xf
	v_add_f32_e32 v1, v1, v2
	ds_swizzle_b32 v2, v1 offset:swizzle(BROADCAST,32,15)
	s_wait_dscnt 0x0
	v_dual_add_f32 v1, v1, v2 :: v_dual_mov_b32 v2, 0
	ds_bpermute_b32 v1, v2, v1 offset:124
	v_mbcnt_lo_u32_b32 v2, -1, 0
	s_delay_alu instid0(VALU_DEP_1)
	v_cmpx_eq_u32_e32 0, v2
	s_cbranch_execz .LBB9_172
; %bb.171:
	v_lshrrev_b32_e32 v3, 3, v0
	s_delay_alu instid0(VALU_DEP_1)
	v_and_b32_e32 v3, 28, v3
	s_wait_dscnt 0x0
	ds_store_b32 v3, v1 offset:128
.LBB9_172:
	s_or_b32 exec_lo, exec_lo, s3
	s_delay_alu instid0(SALU_CYCLE_1)
	s_mov_b32 s3, exec_lo
	s_wait_dscnt 0x0
	s_barrier_signal -1
	s_barrier_wait -1
	v_cmpx_gt_u32_e32 32, v0
	s_cbranch_execz .LBB9_174
; %bb.173:
	v_and_b32_e32 v1, 7, v2
	s_delay_alu instid0(VALU_DEP_1) | instskip(SKIP_1) | instid1(VALU_DEP_1)
	v_cmp_ne_u32_e32 vcc_lo, 7, v1
	v_add_co_ci_u32_e64 v4, null, 0, v2, vcc_lo
	v_lshlrev_b32_e32 v4, 2, v4
	v_cmp_gt_u32_e32 vcc_lo, 6, v1
	v_lshlrev_b32_e32 v3, 2, v1
	v_cndmask_b32_e64 v1, 0, 2, vcc_lo
	s_delay_alu instid0(VALU_DEP_1)
	v_add_lshl_u32 v1, v1, v2, 2
	v_lshlrev_b32_e32 v2, 2, v2
	ds_load_b32 v3, v3 offset:128
	v_or_b32_e32 v2, 16, v2
	s_wait_dscnt 0x0
	ds_bpermute_b32 v4, v4, v3
	s_wait_dscnt 0x0
	v_add_f32_e32 v3, v3, v4
	ds_bpermute_b32 v1, v1, v3
	s_wait_dscnt 0x0
	v_add_f32_e32 v1, v3, v1
	;; [unrolled: 3-line block ×3, first 2 shown]
.LBB9_174:
	s_or_b32 exec_lo, exec_lo, s3
	s_mov_b32 s3, 0
	s_branch .LBB9_180
.LBB9_175:
                                        ; implicit-def: $vgpr1
                                        ; implicit-def: $sgpr34_sgpr35
	s_cbranch_execnz .LBB9_215
	s_branch .LBB9_224
.LBB9_176:
                                        ; implicit-def: $vgpr1
                                        ; implicit-def: $sgpr34_sgpr35
	s_cbranch_execz .LBB9_178
	s_branch .LBB9_195
.LBB9_177:
                                        ; implicit-def: $vgpr1
                                        ; implicit-def: $sgpr34_sgpr35
.LBB9_178:
	s_branch .LBB9_224
.LBB9_179:
	s_mov_b32 s3, -1
                                        ; implicit-def: $vgpr1
.LBB9_180:
	s_delay_alu instid0(SALU_CYCLE_1)
	s_and_b32 vcc_lo, exec_lo, s3
	s_cbranch_vccz .LBB9_194
; %bb.181:
	v_mov_b32_e32 v2, 0
	s_sub_co_i32 s6, s38, s2
	s_mov_b32 s2, exec_lo
	s_delay_alu instid0(VALU_DEP_1)
	v_dual_mov_b32 v3, v2 :: v_dual_mov_b32 v4, v2
	v_mov_b32_e32 v5, v2
	v_cmpx_gt_u32_e64 s6, v0
	s_cbranch_execz .LBB9_183
; %bb.182:
	global_load_b32 v4, v0, s[4:5] scale_offset
	v_dual_mov_b32 v5, v2 :: v_dual_mov_b32 v6, v2
	v_mov_b32_e32 v7, v2
	s_wait_loadcnt 0x0
	s_delay_alu instid0(VALU_DEP_2) | instskip(NEXT) | instid1(VALU_DEP_2)
	v_mov_b64_e32 v[2:3], v[4:5]
	v_mov_b64_e32 v[4:5], v[6:7]
.LBB9_183:
	s_or_b32 exec_lo, exec_lo, s2
	v_or_b32_e32 v1, 0x100, v0
	s_delay_alu instid0(VALU_DEP_1)
	v_cmp_gt_u32_e32 vcc_lo, s6, v1
	s_and_saveexec_b32 s2, vcc_lo
	s_cbranch_execz .LBB9_185
; %bb.184:
	global_load_b32 v3, v0, s[4:5] offset:1024 scale_offset
.LBB9_185:
	s_wait_xcnt 0x0
	s_or_b32 exec_lo, exec_lo, s2
	v_or_b32_e32 v1, 0x200, v0
	s_delay_alu instid0(VALU_DEP_1)
	v_cmp_gt_u32_e64 s2, s6, v1
	s_and_saveexec_b32 s3, s2
	s_cbranch_execz .LBB9_187
; %bb.186:
	global_load_b32 v4, v0, s[4:5] offset:2048 scale_offset
.LBB9_187:
	s_wait_xcnt 0x0
	s_or_b32 exec_lo, exec_lo, s3
	v_or_b32_e32 v1, 0x300, v0
	s_delay_alu instid0(VALU_DEP_1)
	v_cmp_gt_u32_e64 s3, s6, v1
	s_and_saveexec_b32 s7, s3
	s_cbranch_execz .LBB9_189
; %bb.188:
	global_load_b32 v5, v0, s[4:5] offset:3072 scale_offset
.LBB9_189:
	s_wait_xcnt 0x0
	s_or_b32 exec_lo, exec_lo, s7
	s_wait_loadcnt 0x0
	v_add_f32_e32 v1, v2, v3
	s_delay_alu instid0(VALU_DEP_1) | instskip(SKIP_1) | instid1(VALU_DEP_1)
	v_cndmask_b32_e32 v1, v2, v1, vcc_lo
	v_mbcnt_lo_u32_b32 v2, -1, 0
	v_dual_add_f32 v3, v4, v1 :: v_dual_add_nc_u32 v6, 1, v2
	v_cmp_ne_u32_e32 vcc_lo, 31, v2
	s_delay_alu instid0(VALU_DEP_2) | instskip(SKIP_3) | instid1(VALU_DEP_3)
	v_dual_add_nc_u32 v7, 2, v2 :: v_dual_cndmask_b32 v1, v1, v3, s2
	v_add_co_ci_u32_e64 v3, null, 0, v2, vcc_lo
	v_cmp_gt_u32_e32 vcc_lo, 30, v2
	v_cmp_gt_u32_e64 s2, 28, v2
	v_dual_add_f32 v4, v5, v1 :: v_dual_lshlrev_b32 v3, 2, v3
	v_cndmask_b32_e64 v5, 0, 2, vcc_lo
	s_delay_alu instid0(VALU_DEP_2) | instskip(SKIP_2) | instid1(VALU_DEP_3)
	v_cndmask_b32_e64 v1, v1, v4, s3
	v_and_b32_e32 v4, 0xe0, v0
	s_min_u32 s3, s6, 0x100
	v_add_lshl_u32 v5, v5, v2, 2
	ds_bpermute_b32 v3, v3, v1
	v_sub_nc_u32_e64 v4, s3, v4 clamp
	s_delay_alu instid0(VALU_DEP_1) | instskip(SKIP_3) | instid1(VALU_DEP_3)
	v_cmp_lt_u32_e32 vcc_lo, v6, v4
	v_cndmask_b32_e64 v6, 0, 4, s2
	v_cmp_lt_u32_e64 s2, v7, v4
	v_add_nc_u32_e32 v7, 4, v2
	v_add_lshl_u32 v6, v6, v2, 2
	s_wait_dscnt 0x0
	v_add_f32_e32 v3, v1, v3
	s_delay_alu instid0(VALU_DEP_1) | instskip(SKIP_3) | instid1(VALU_DEP_1)
	v_cndmask_b32_e32 v3, v1, v3, vcc_lo
	ds_bpermute_b32 v5, v5, v3
	s_wait_dscnt 0x0
	v_add_f32_e32 v5, v3, v5
	v_cndmask_b32_e64 v3, v3, v5, s2
	v_cmp_gt_u32_e64 s2, 24, v2
	ds_bpermute_b32 v5, v6, v3
	v_cndmask_b32_e64 v6, 0, 8, s2
	v_cmp_lt_u32_e64 s2, v7, v4
	v_add_nc_u32_e32 v7, 8, v2
	s_delay_alu instid0(VALU_DEP_3) | instskip(SKIP_2) | instid1(VALU_DEP_1)
	v_add_lshl_u32 v6, v6, v2, 2
	s_wait_dscnt 0x0
	v_add_f32_e32 v5, v3, v5
	v_dual_cndmask_b32 v5, v3, v5, s2 :: v_dual_lshlrev_b32 v3, 2, v2
	v_cmp_lt_u32_e64 s2, v7, v4
	s_delay_alu instid0(VALU_DEP_2) | instskip(SKIP_3) | instid1(VALU_DEP_1)
	v_dual_add_nc_u32 v7, 16, v2 :: v_dual_bitop2_b32 v8, 64, v3 bitop3:0x54
	ds_bpermute_b32 v6, v6, v5
	s_wait_dscnt 0x0
	v_add_f32_e32 v6, v5, v6
	v_cndmask_b32_e64 v5, v5, v6, s2
	v_cmp_lt_u32_e64 s2, v7, v4
	ds_bpermute_b32 v6, v8, v5
	s_wait_dscnt 0x0
	v_add_f32_e32 v6, v5, v6
	s_delay_alu instid0(VALU_DEP_1) | instskip(SKIP_1) | instid1(VALU_DEP_1)
	v_cndmask_b32_e64 v4, v5, v6, s2
	s_mov_b32 s2, exec_lo
	v_cndmask_b32_e32 v1, v1, v4, vcc_lo
	v_cmpx_eq_u32_e32 0, v2
; %bb.190:
	v_lshrrev_b32_e32 v4, 3, v0
	s_delay_alu instid0(VALU_DEP_1)
	v_and_b32_e32 v4, 28, v4
	ds_store_b32 v4, v1 offset:192
; %bb.191:
	s_or_b32 exec_lo, exec_lo, s2
	s_delay_alu instid0(SALU_CYCLE_1)
	s_mov_b32 s4, exec_lo
	s_wait_dscnt 0x0
	s_barrier_signal -1
	s_barrier_wait -1
	v_cmpx_gt_u32_e32 8, v0
	s_cbranch_execz .LBB9_193
; %bb.192:
	ds_load_b32 v1, v3 offset:192
	v_and_b32_e32 v4, 7, v2
	s_add_co_i32 s3, s3, 31
	v_or_b32_e32 v3, 16, v3
	s_lshr_b32 s3, s3, 5
	s_delay_alu instid0(VALU_DEP_2) | instskip(SKIP_1) | instid1(VALU_DEP_1)
	v_cmp_ne_u32_e32 vcc_lo, 7, v4
	v_add_co_ci_u32_e64 v5, null, 0, v2, vcc_lo
	v_lshlrev_b32_e32 v5, 2, v5
	v_cmp_gt_u32_e32 vcc_lo, 6, v4
	s_wait_dscnt 0x0
	ds_bpermute_b32 v5, v5, v1
	v_add_nc_u32_e32 v7, 1, v4
	v_cndmask_b32_e64 v6, 0, 2, vcc_lo
	s_delay_alu instid0(VALU_DEP_1) | instskip(SKIP_1) | instid1(VALU_DEP_1)
	v_add_lshl_u32 v2, v6, v2, 2
	v_dual_add_nc_u32 v6, 2, v4 :: v_dual_add_nc_u32 v4, 4, v4
	v_cmp_gt_u32_e64 s2, s3, v6
	s_wait_dscnt 0x0
	v_add_f32_e32 v5, v1, v5
	v_cmp_gt_u32_e32 vcc_lo, s3, v7
	s_delay_alu instid0(VALU_DEP_2) | instskip(SKIP_3) | instid1(VALU_DEP_1)
	v_cndmask_b32_e32 v5, v1, v5, vcc_lo
	ds_bpermute_b32 v2, v2, v5
	s_wait_dscnt 0x0
	v_add_f32_e32 v2, v5, v2
	v_cndmask_b32_e64 v2, v5, v2, s2
	v_cmp_gt_u32_e64 s2, s3, v4
	ds_bpermute_b32 v3, v3, v2
	s_wait_dscnt 0x0
	v_add_f32_e32 v3, v2, v3
	s_delay_alu instid0(VALU_DEP_1) | instskip(NEXT) | instid1(VALU_DEP_1)
	v_cndmask_b32_e64 v2, v2, v3, s2
	v_cndmask_b32_e32 v1, v1, v2, vcc_lo
.LBB9_193:
	s_or_b32 exec_lo, exec_lo, s4
.LBB9_194:
	v_cmp_eq_u32_e64 s2, 0, v0
	s_branch .LBB9_178
.LBB9_195:
	s_cmp_eq_u32 s33, 2
	s_cbranch_scc0 .LBB9_202
; %bb.196:
	s_bfe_u32 s2, ttmp6, 0x4000c
	s_and_b32 s3, ttmp6, 15
	s_add_co_i32 s2, s2, 1
	s_getreg_b32 s4, hwreg(HW_REG_IB_STS2, 6, 4)
	s_mul_i32 s2, ttmp9, s2
	s_mov_b32 s35, 0
	s_add_co_i32 s3, s3, s2
	s_cmp_eq_u32 s4, 0
	s_mov_b32 s5, s35
	s_cselect_b32 s34, ttmp9, s3
	s_lshr_b64 s[2:3], s[38:39], 9
	s_lshl_b32 s4, s34, 9
	s_delay_alu instid0(SALU_CYCLE_1)
	s_lshl_b64 s[6:7], s[4:5], 2
	s_cmp_lg_u64 s[2:3], s[34:35]
	s_add_nc_u64 s[2:3], s[36:37], s[6:7]
	s_cbranch_scc0 .LBB9_203
; %bb.197:
	s_clause 0x1
	global_load_b32 v1, v0, s[2:3] scale_offset
	global_load_b32 v2, v0, s[2:3] offset:1024 scale_offset
	s_mov_b32 s5, exec_lo
	s_wait_loadcnt 0x0
	v_add_f32_e32 v1, v1, v2
	s_delay_alu instid0(VALU_DEP_1) | instskip(NEXT) | instid1(VALU_DEP_1)
	v_mov_b32_dpp v2, v1 quad_perm:[1,0,3,2] row_mask:0xf bank_mask:0xf
	v_add_f32_e32 v1, v1, v2
	s_delay_alu instid0(VALU_DEP_1) | instskip(NEXT) | instid1(VALU_DEP_1)
	v_mov_b32_dpp v2, v1 quad_perm:[2,3,0,1] row_mask:0xf bank_mask:0xf
	v_add_f32_e32 v1, v1, v2
	s_delay_alu instid0(VALU_DEP_1) | instskip(NEXT) | instid1(VALU_DEP_1)
	v_mov_b32_dpp v2, v1 row_ror:4 row_mask:0xf bank_mask:0xf
	v_add_f32_e32 v1, v1, v2
	s_delay_alu instid0(VALU_DEP_1) | instskip(NEXT) | instid1(VALU_DEP_1)
	v_mov_b32_dpp v2, v1 row_ror:8 row_mask:0xf bank_mask:0xf
	v_add_f32_e32 v1, v1, v2
	ds_swizzle_b32 v2, v1 offset:swizzle(BROADCAST,32,15)
	s_wait_dscnt 0x0
	v_dual_add_f32 v1, v1, v2 :: v_dual_mov_b32 v2, 0
	ds_bpermute_b32 v1, v2, v1 offset:124
	v_mbcnt_lo_u32_b32 v2, -1, 0
	s_delay_alu instid0(VALU_DEP_1)
	v_cmpx_eq_u32_e32 0, v2
	s_cbranch_execz .LBB9_199
; %bb.198:
	v_lshrrev_b32_e32 v3, 3, v0
	s_delay_alu instid0(VALU_DEP_1)
	v_and_b32_e32 v3, 28, v3
	s_wait_dscnt 0x0
	ds_store_b32 v3, v1 offset:64
.LBB9_199:
	s_or_b32 exec_lo, exec_lo, s5
	s_delay_alu instid0(SALU_CYCLE_1)
	s_mov_b32 s5, exec_lo
	s_wait_dscnt 0x0
	s_barrier_signal -1
	s_barrier_wait -1
	v_cmpx_gt_u32_e32 32, v0
	s_cbranch_execz .LBB9_201
; %bb.200:
	v_and_b32_e32 v1, 7, v2
	s_delay_alu instid0(VALU_DEP_1) | instskip(SKIP_1) | instid1(VALU_DEP_1)
	v_cmp_ne_u32_e32 vcc_lo, 7, v1
	v_add_co_ci_u32_e64 v4, null, 0, v2, vcc_lo
	v_lshlrev_b32_e32 v4, 2, v4
	v_cmp_gt_u32_e32 vcc_lo, 6, v1
	v_lshlrev_b32_e32 v3, 2, v1
	v_cndmask_b32_e64 v1, 0, 2, vcc_lo
	s_delay_alu instid0(VALU_DEP_1)
	v_add_lshl_u32 v1, v1, v2, 2
	v_lshlrev_b32_e32 v2, 2, v2
	ds_load_b32 v3, v3 offset:64
	v_or_b32_e32 v2, 16, v2
	s_wait_dscnt 0x0
	ds_bpermute_b32 v4, v4, v3
	s_wait_dscnt 0x0
	v_add_f32_e32 v3, v3, v4
	ds_bpermute_b32 v1, v1, v3
	s_wait_dscnt 0x0
	v_add_f32_e32 v1, v3, v1
	;; [unrolled: 3-line block ×3, first 2 shown]
.LBB9_201:
	s_or_b32 exec_lo, exec_lo, s5
	s_mov_b32 s5, 0
	s_branch .LBB9_204
.LBB9_202:
                                        ; implicit-def: $vgpr1
                                        ; implicit-def: $sgpr34_sgpr35
	s_branch .LBB9_224
.LBB9_203:
	s_mov_b32 s5, -1
                                        ; implicit-def: $vgpr1
.LBB9_204:
	s_delay_alu instid0(SALU_CYCLE_1)
	s_and_b32 vcc_lo, exec_lo, s5
	s_cbranch_vccz .LBB9_214
; %bb.205:
	v_mov_b64_e32 v[2:3], 0
	s_sub_co_i32 s4, s38, s4
	s_mov_b32 s5, exec_lo
	v_cmpx_gt_u32_e64 s4, v0
	s_cbranch_execz .LBB9_207
; %bb.206:
	global_load_b32 v2, v0, s[2:3] scale_offset
	v_mov_b32_e32 v3, 0
.LBB9_207:
	s_wait_xcnt 0x0
	s_or_b32 exec_lo, exec_lo, s5
	v_or_b32_e32 v1, 0x100, v0
	s_delay_alu instid0(VALU_DEP_1)
	v_cmp_gt_u32_e32 vcc_lo, s4, v1
	s_and_saveexec_b32 s5, vcc_lo
	s_cbranch_execz .LBB9_209
; %bb.208:
	global_load_b32 v3, v0, s[2:3] offset:1024 scale_offset
.LBB9_209:
	s_wait_xcnt 0x0
	s_or_b32 exec_lo, exec_lo, s5
	v_mbcnt_lo_u32_b32 v4, -1, 0
	s_wait_loadcnt 0x0
	v_add_f32_e32 v1, v3, v2
	s_min_u32 s3, s4, 0x100
	s_delay_alu instid0(VALU_DEP_2) | instskip(NEXT) | instid1(VALU_DEP_2)
	v_cmp_ne_u32_e64 s2, 31, v4
	v_dual_cndmask_b32 v1, v2, v1 :: v_dual_add_nc_u32 v6, 1, v4
	v_cmp_gt_u32_e32 vcc_lo, 30, v4
	v_add_nc_u32_e32 v7, 2, v4
	s_delay_alu instid0(VALU_DEP_4) | instskip(SKIP_2) | instid1(VALU_DEP_3)
	v_add_co_ci_u32_e64 v3, null, 0, v4, s2
	v_cmp_gt_u32_e64 s2, 28, v4
	v_cndmask_b32_e64 v5, 0, 2, vcc_lo
	v_lshlrev_b32_e32 v2, 2, v3
	v_and_b32_e32 v3, 0xe0, v0
	s_delay_alu instid0(VALU_DEP_3) | instskip(SKIP_2) | instid1(VALU_DEP_1)
	v_add_lshl_u32 v5, v5, v4, 2
	ds_bpermute_b32 v2, v2, v1
	v_sub_nc_u32_e64 v3, s3, v3 clamp
	v_cmp_lt_u32_e32 vcc_lo, v6, v3
	v_cndmask_b32_e64 v6, 0, 4, s2
	v_cmp_lt_u32_e64 s2, v7, v3
	v_add_nc_u32_e32 v7, 4, v4
	s_delay_alu instid0(VALU_DEP_3) | instskip(SKIP_2) | instid1(VALU_DEP_1)
	v_add_lshl_u32 v6, v6, v4, 2
	s_wait_dscnt 0x0
	v_add_f32_e32 v2, v1, v2
	v_cndmask_b32_e32 v2, v1, v2, vcc_lo
	ds_bpermute_b32 v5, v5, v2
	s_wait_dscnt 0x0
	v_add_f32_e32 v5, v2, v5
	s_delay_alu instid0(VALU_DEP_1)
	v_cndmask_b32_e64 v2, v2, v5, s2
	v_cmp_gt_u32_e64 s2, 24, v4
	ds_bpermute_b32 v5, v6, v2
	v_cndmask_b32_e64 v6, 0, 8, s2
	v_cmp_lt_u32_e64 s2, v7, v3
	v_add_nc_u32_e32 v7, 8, v4
	s_delay_alu instid0(VALU_DEP_3) | instskip(SKIP_2) | instid1(VALU_DEP_1)
	v_add_lshl_u32 v6, v6, v4, 2
	s_wait_dscnt 0x0
	v_add_f32_e32 v5, v2, v5
	v_cndmask_b32_e64 v5, v2, v5, s2
	v_cmp_lt_u32_e64 s2, v7, v3
	v_dual_add_nc_u32 v7, 16, v4 :: v_dual_lshlrev_b32 v2, 2, v4
	ds_bpermute_b32 v6, v6, v5
	v_or_b32_e32 v8, 64, v2
	s_wait_dscnt 0x0
	v_add_f32_e32 v6, v5, v6
	s_delay_alu instid0(VALU_DEP_1) | instskip(SKIP_4) | instid1(VALU_DEP_1)
	v_cndmask_b32_e64 v5, v5, v6, s2
	v_cmp_lt_u32_e64 s2, v7, v3
	ds_bpermute_b32 v6, v8, v5
	s_wait_dscnt 0x0
	v_add_f32_e32 v6, v5, v6
	v_cndmask_b32_e64 v3, v5, v6, s2
	s_mov_b32 s2, exec_lo
	s_delay_alu instid0(VALU_DEP_1)
	v_cndmask_b32_e32 v1, v1, v3, vcc_lo
	v_cmpx_eq_u32_e32 0, v4
; %bb.210:
	v_lshrrev_b32_e32 v3, 3, v0
	s_delay_alu instid0(VALU_DEP_1)
	v_and_b32_e32 v3, 28, v3
	ds_store_b32 v3, v1 offset:192
; %bb.211:
	s_or_b32 exec_lo, exec_lo, s2
	s_delay_alu instid0(SALU_CYCLE_1)
	s_mov_b32 s4, exec_lo
	s_wait_dscnt 0x0
	s_barrier_signal -1
	s_barrier_wait -1
	v_cmpx_gt_u32_e32 8, v0
	s_cbranch_execz .LBB9_213
; %bb.212:
	ds_load_b32 v1, v2 offset:192
	v_and_b32_e32 v3, 7, v4
	s_add_co_i32 s3, s3, 31
	v_or_b32_e32 v2, 16, v2
	s_lshr_b32 s3, s3, 5
	s_delay_alu instid0(VALU_DEP_2) | instskip(SKIP_1) | instid1(VALU_DEP_1)
	v_cmp_ne_u32_e32 vcc_lo, 7, v3
	v_add_co_ci_u32_e64 v5, null, 0, v4, vcc_lo
	v_lshlrev_b32_e32 v5, 2, v5
	v_cmp_gt_u32_e32 vcc_lo, 6, v3
	s_wait_dscnt 0x0
	ds_bpermute_b32 v5, v5, v1
	v_add_nc_u32_e32 v7, 1, v3
	v_cndmask_b32_e64 v6, 0, 2, vcc_lo
	s_delay_alu instid0(VALU_DEP_1) | instskip(SKIP_1) | instid1(VALU_DEP_1)
	v_add_lshl_u32 v4, v6, v4, 2
	v_dual_add_nc_u32 v6, 2, v3 :: v_dual_add_nc_u32 v3, 4, v3
	v_cmp_gt_u32_e64 s2, s3, v6
	s_wait_dscnt 0x0
	v_add_f32_e32 v5, v1, v5
	v_cmp_gt_u32_e32 vcc_lo, s3, v7
	s_delay_alu instid0(VALU_DEP_2) | instskip(SKIP_3) | instid1(VALU_DEP_1)
	v_cndmask_b32_e32 v5, v1, v5, vcc_lo
	ds_bpermute_b32 v4, v4, v5
	s_wait_dscnt 0x0
	v_add_f32_e32 v4, v5, v4
	v_cndmask_b32_e64 v4, v5, v4, s2
	v_cmp_gt_u32_e64 s2, s3, v3
	ds_bpermute_b32 v2, v2, v4
	s_wait_dscnt 0x0
	v_add_f32_e32 v2, v4, v2
	s_delay_alu instid0(VALU_DEP_1) | instskip(NEXT) | instid1(VALU_DEP_1)
	v_cndmask_b32_e64 v2, v4, v2, s2
	v_cndmask_b32_e32 v1, v1, v2, vcc_lo
.LBB9_213:
	s_or_b32 exec_lo, exec_lo, s4
.LBB9_214:
	v_cmp_eq_u32_e64 s2, 0, v0
	s_branch .LBB9_224
.LBB9_215:
	s_cmp_eq_u32 s33, 1
	s_cbranch_scc0 .LBB9_223
; %bb.216:
	s_bfe_u32 s2, ttmp6, 0x4000c
	s_and_b32 s4, ttmp6, 15
	s_add_co_i32 s2, s2, 1
	s_getreg_b32 s5, hwreg(HW_REG_IB_STS2, 6, 4)
	s_mul_i32 s2, ttmp9, s2
	s_mov_b32 s3, 0
	s_add_co_i32 s4, s4, s2
	s_cmp_eq_u32 s5, 0
	v_mbcnt_lo_u32_b32 v2, -1, 0
	s_cselect_b32 s34, ttmp9, s4
	s_mov_b32 s35, s3
	s_lshr_b64 s[4:5], s[38:39], 8
	s_lshl_b32 s2, s34, 8
	s_cmp_lg_u64 s[4:5], s[34:35]
	s_cbranch_scc0 .LBB9_227
; %bb.217:
	s_lshl_b64 s[4:5], s[2:3], 2
	s_delay_alu instid0(SALU_CYCLE_1)
	s_add_nc_u64 s[4:5], s[36:37], s[4:5]
	global_load_b32 v1, v0, s[4:5] scale_offset
	s_wait_xcnt 0x0
	s_mov_b32 s4, exec_lo
	s_wait_loadcnt 0x0
	v_mov_b32_dpp v3, v1 quad_perm:[1,0,3,2] row_mask:0xf bank_mask:0xf
	s_delay_alu instid0(VALU_DEP_1) | instskip(NEXT) | instid1(VALU_DEP_1)
	v_add_f32_e32 v1, v1, v3
	v_mov_b32_dpp v3, v1 quad_perm:[2,3,0,1] row_mask:0xf bank_mask:0xf
	s_delay_alu instid0(VALU_DEP_1) | instskip(NEXT) | instid1(VALU_DEP_1)
	v_add_f32_e32 v1, v1, v3
	v_mov_b32_dpp v3, v1 row_ror:4 row_mask:0xf bank_mask:0xf
	s_delay_alu instid0(VALU_DEP_1) | instskip(NEXT) | instid1(VALU_DEP_1)
	v_add_f32_e32 v1, v1, v3
	v_mov_b32_dpp v3, v1 row_ror:8 row_mask:0xf bank_mask:0xf
	s_delay_alu instid0(VALU_DEP_1)
	v_add_f32_e32 v1, v1, v3
	ds_swizzle_b32 v3, v1 offset:swizzle(BROADCAST,32,15)
	s_wait_dscnt 0x0
	v_dual_add_f32 v1, v1, v3 :: v_dual_mov_b32 v3, 0
	ds_bpermute_b32 v1, v3, v1 offset:124
	v_cmpx_eq_u32_e32 0, v2
	s_cbranch_execz .LBB9_219
; %bb.218:
	v_lshrrev_b32_e32 v3, 3, v0
	s_delay_alu instid0(VALU_DEP_1)
	v_and_b32_e32 v3, 28, v3
	s_wait_dscnt 0x0
	ds_store_b32 v3, v1 offset:32
.LBB9_219:
	s_or_b32 exec_lo, exec_lo, s4
	s_delay_alu instid0(SALU_CYCLE_1)
	s_mov_b32 s4, exec_lo
	s_wait_dscnt 0x0
	s_barrier_signal -1
	s_barrier_wait -1
	v_cmpx_gt_u32_e32 32, v0
	s_cbranch_execz .LBB9_221
; %bb.220:
	v_and_b32_e32 v1, 7, v2
	s_delay_alu instid0(VALU_DEP_1) | instskip(SKIP_1) | instid1(VALU_DEP_1)
	v_cmp_ne_u32_e32 vcc_lo, 7, v1
	v_add_co_ci_u32_e64 v4, null, 0, v2, vcc_lo
	v_dual_lshlrev_b32 v4, 2, v4 :: v_dual_lshlrev_b32 v3, 2, v1
	v_cmp_gt_u32_e32 vcc_lo, 6, v1
	ds_load_b32 v3, v3 offset:32
	v_cndmask_b32_e64 v1, 0, 2, vcc_lo
	s_delay_alu instid0(VALU_DEP_1)
	v_add_lshl_u32 v1, v1, v2, 2
	s_wait_dscnt 0x0
	ds_bpermute_b32 v4, v4, v3
	s_wait_dscnt 0x0
	v_dual_add_f32 v3, v3, v4 :: v_dual_lshlrev_b32 v4, 2, v2
	ds_bpermute_b32 v1, v1, v3
	s_wait_dscnt 0x0
	v_dual_add_f32 v1, v3, v1 :: v_dual_bitop2_b32 v3, 16, v4 bitop3:0x54
	ds_bpermute_b32 v3, v3, v1
	s_wait_dscnt 0x0
	v_add_f32_e32 v1, v1, v3
.LBB9_221:
	s_or_b32 exec_lo, exec_lo, s4
.LBB9_222:
	v_cmp_eq_u32_e64 s2, 0, v0
	s_and_saveexec_b32 s3, s2
	s_cbranch_execnz .LBB9_225
	s_branch .LBB9_226
.LBB9_223:
                                        ; implicit-def: $vgpr1
                                        ; implicit-def: $sgpr34_sgpr35
.LBB9_224:
	s_delay_alu instid0(VALU_DEP_1)
	s_and_saveexec_b32 s3, s2
	s_cbranch_execz .LBB9_226
.LBB9_225:
	s_load_b96 s[4:6], s[0:1], 0x18
	s_wait_xcnt 0x0
	s_lshl_b64 s[0:1], s[34:35], 2
	s_cmp_eq_u64 s[38:39], 0
	s_cselect_b32 s2, -1, 0
	s_wait_kmcnt 0x0
	v_dual_add_f32 v0, s6, v1 :: v_dual_mov_b32 v1, 0
	s_add_nc_u64 s[0:1], s[4:5], s[0:1]
	s_delay_alu instid0(VALU_DEP_1)
	v_cndmask_b32_e64 v0, v0, s6, s2
	global_store_b32 v1, v0, s[0:1]
.LBB9_226:
	s_endpgm
.LBB9_227:
                                        ; implicit-def: $vgpr1
	s_cbranch_execz .LBB9_222
; %bb.228:
	s_sub_co_i32 s4, s38, s2
	s_mov_b32 s5, exec_lo
                                        ; implicit-def: $vgpr1
	v_cmpx_gt_u32_e64 s4, v0
	s_cbranch_execz .LBB9_230
; %bb.229:
	s_lshl_b64 s[2:3], s[2:3], 2
	s_delay_alu instid0(SALU_CYCLE_1)
	s_add_nc_u64 s[2:3], s[36:37], s[2:3]
	global_load_b32 v1, v0, s[2:3] scale_offset
.LBB9_230:
	s_wait_xcnt 0x0
	s_or_b32 exec_lo, exec_lo, s5
	v_cmp_ne_u32_e32 vcc_lo, 31, v2
	v_and_b32_e32 v4, 0xe0, v0
	s_min_u32 s3, s4, 0x100
	v_cmp_gt_u32_e64 s2, 28, v2
	v_add_nc_u32_e32 v5, 1, v2
	v_add_co_ci_u32_e64 v3, null, 0, v2, vcc_lo
	v_cmp_gt_u32_e32 vcc_lo, 30, v2
	v_sub_nc_u32_e64 v4, s3, v4 clamp
	s_delay_alu instid0(VALU_DEP_3) | instskip(SKIP_1) | instid1(VALU_DEP_3)
	v_dual_add_nc_u32 v7, 2, v2 :: v_dual_lshlrev_b32 v3, 2, v3
	v_cndmask_b32_e64 v6, 0, 2, vcc_lo
	v_cmp_lt_u32_e32 vcc_lo, v5, v4
	s_wait_loadcnt 0x0
	ds_bpermute_b32 v3, v3, v1
	v_add_lshl_u32 v6, v6, v2, 2
	s_wait_dscnt 0x0
	v_add_f32_e32 v3, v1, v3
	s_delay_alu instid0(VALU_DEP_1) | instskip(SKIP_4) | instid1(VALU_DEP_3)
	v_cndmask_b32_e32 v3, v1, v3, vcc_lo
	ds_bpermute_b32 v5, v6, v3
	v_cndmask_b32_e64 v6, 0, 4, s2
	v_cmp_lt_u32_e64 s2, v7, v4
	v_add_nc_u32_e32 v7, 4, v2
	v_add_lshl_u32 v6, v6, v2, 2
	s_wait_dscnt 0x0
	v_add_f32_e32 v5, v3, v5
	s_delay_alu instid0(VALU_DEP_1)
	v_cndmask_b32_e64 v3, v3, v5, s2
	v_cmp_gt_u32_e64 s2, 24, v2
	ds_bpermute_b32 v5, v6, v3
	v_cndmask_b32_e64 v6, 0, 8, s2
	v_cmp_lt_u32_e64 s2, v7, v4
	v_add_nc_u32_e32 v7, 8, v2
	s_delay_alu instid0(VALU_DEP_3) | instskip(SKIP_2) | instid1(VALU_DEP_1)
	v_add_lshl_u32 v6, v6, v2, 2
	s_wait_dscnt 0x0
	v_add_f32_e32 v5, v3, v5
	v_cndmask_b32_e64 v5, v3, v5, s2
	v_cmp_lt_u32_e64 s2, v7, v4
	v_dual_add_nc_u32 v7, 16, v2 :: v_dual_lshlrev_b32 v3, 2, v2
	ds_bpermute_b32 v6, v6, v5
	s_wait_dscnt 0x0
	v_dual_add_f32 v6, v5, v6 :: v_dual_bitop2_b32 v8, 64, v3 bitop3:0x54
	s_delay_alu instid0(VALU_DEP_1) | instskip(SKIP_4) | instid1(VALU_DEP_1)
	v_cndmask_b32_e64 v5, v5, v6, s2
	v_cmp_lt_u32_e64 s2, v7, v4
	ds_bpermute_b32 v6, v8, v5
	s_wait_dscnt 0x0
	v_add_f32_e32 v6, v5, v6
	v_cndmask_b32_e64 v4, v5, v6, s2
	s_mov_b32 s2, exec_lo
	s_delay_alu instid0(VALU_DEP_1)
	v_cndmask_b32_e32 v1, v1, v4, vcc_lo
	v_cmpx_eq_u32_e32 0, v2
; %bb.231:
	v_lshrrev_b32_e32 v4, 3, v0
	s_delay_alu instid0(VALU_DEP_1)
	v_and_b32_e32 v4, 28, v4
	ds_store_b32 v4, v1 offset:192
; %bb.232:
	s_or_b32 exec_lo, exec_lo, s2
	s_delay_alu instid0(SALU_CYCLE_1)
	s_mov_b32 s4, exec_lo
	s_wait_dscnt 0x0
	s_barrier_signal -1
	s_barrier_wait -1
	v_cmpx_gt_u32_e32 8, v0
	s_cbranch_execz .LBB9_234
; %bb.233:
	ds_load_b32 v1, v3 offset:192
	v_and_b32_e32 v4, 7, v2
	s_add_co_i32 s3, s3, 31
	v_or_b32_e32 v3, 16, v3
	s_lshr_b32 s3, s3, 5
	s_delay_alu instid0(VALU_DEP_2) | instskip(SKIP_1) | instid1(VALU_DEP_1)
	v_cmp_ne_u32_e32 vcc_lo, 7, v4
	v_add_co_ci_u32_e64 v5, null, 0, v2, vcc_lo
	v_lshlrev_b32_e32 v5, 2, v5
	v_cmp_gt_u32_e32 vcc_lo, 6, v4
	s_wait_dscnt 0x0
	ds_bpermute_b32 v5, v5, v1
	v_add_nc_u32_e32 v7, 1, v4
	v_cndmask_b32_e64 v6, 0, 2, vcc_lo
	s_delay_alu instid0(VALU_DEP_1) | instskip(SKIP_1) | instid1(VALU_DEP_1)
	v_add_lshl_u32 v2, v6, v2, 2
	v_dual_add_nc_u32 v6, 2, v4 :: v_dual_add_nc_u32 v4, 4, v4
	v_cmp_gt_u32_e64 s2, s3, v6
	s_wait_dscnt 0x0
	v_add_f32_e32 v5, v1, v5
	v_cmp_gt_u32_e32 vcc_lo, s3, v7
	s_delay_alu instid0(VALU_DEP_2) | instskip(SKIP_3) | instid1(VALU_DEP_1)
	v_cndmask_b32_e32 v5, v1, v5, vcc_lo
	ds_bpermute_b32 v2, v2, v5
	s_wait_dscnt 0x0
	v_add_f32_e32 v2, v5, v2
	v_cndmask_b32_e64 v2, v5, v2, s2
	v_cmp_gt_u32_e64 s2, s3, v4
	ds_bpermute_b32 v3, v3, v2
	s_wait_dscnt 0x0
	v_add_f32_e32 v3, v2, v3
	s_delay_alu instid0(VALU_DEP_1) | instskip(NEXT) | instid1(VALU_DEP_1)
	v_cndmask_b32_e64 v2, v2, v3, s2
	v_cndmask_b32_e32 v1, v1, v2, vcc_lo
.LBB9_234:
	s_or_b32 exec_lo, exec_lo, s4
	v_cmp_eq_u32_e64 s2, 0, v0
	s_and_saveexec_b32 s3, s2
	s_cbranch_execnz .LBB9_225
	s_branch .LBB9_226
	.section	.rodata,"a",@progbits
	.p2align	6, 0x0
	.amdhsa_kernel _ZN7rocprim17ROCPRIM_400000_NS6detail17trampoline_kernelINS0_14default_configENS1_22reduce_config_selectorIfEEZNS1_11reduce_implILb1ES3_PfS7_fN6thrust23THRUST_200600_302600_NS4plusIfEEEE10hipError_tPvRmT1_T2_T3_mT4_P12ihipStream_tbEUlT_E1_NS1_11comp_targetILNS1_3genE0ELNS1_11target_archE4294967295ELNS1_3gpuE0ELNS1_3repE0EEENS1_30default_config_static_selectorELNS0_4arch9wavefront6targetE0EEEvSF_
		.amdhsa_group_segment_fixed_size 224
		.amdhsa_private_segment_fixed_size 0
		.amdhsa_kernarg_size 40
		.amdhsa_user_sgpr_count 2
		.amdhsa_user_sgpr_dispatch_ptr 0
		.amdhsa_user_sgpr_queue_ptr 0
		.amdhsa_user_sgpr_kernarg_segment_ptr 1
		.amdhsa_user_sgpr_dispatch_id 0
		.amdhsa_user_sgpr_kernarg_preload_length 0
		.amdhsa_user_sgpr_kernarg_preload_offset 0
		.amdhsa_user_sgpr_private_segment_size 0
		.amdhsa_wavefront_size32 1
		.amdhsa_uses_dynamic_stack 0
		.amdhsa_enable_private_segment 0
		.amdhsa_system_sgpr_workgroup_id_x 1
		.amdhsa_system_sgpr_workgroup_id_y 0
		.amdhsa_system_sgpr_workgroup_id_z 0
		.amdhsa_system_sgpr_workgroup_info 0
		.amdhsa_system_vgpr_workitem_id 0
		.amdhsa_next_free_vgpr 36
		.amdhsa_next_free_sgpr 45
		.amdhsa_named_barrier_count 0
		.amdhsa_reserve_vcc 1
		.amdhsa_float_round_mode_32 0
		.amdhsa_float_round_mode_16_64 0
		.amdhsa_float_denorm_mode_32 3
		.amdhsa_float_denorm_mode_16_64 3
		.amdhsa_fp16_overflow 0
		.amdhsa_memory_ordered 1
		.amdhsa_forward_progress 1
		.amdhsa_inst_pref_size 94
		.amdhsa_round_robin_scheduling 0
		.amdhsa_exception_fp_ieee_invalid_op 0
		.amdhsa_exception_fp_denorm_src 0
		.amdhsa_exception_fp_ieee_div_zero 0
		.amdhsa_exception_fp_ieee_overflow 0
		.amdhsa_exception_fp_ieee_underflow 0
		.amdhsa_exception_fp_ieee_inexact 0
		.amdhsa_exception_int_div_zero 0
	.end_amdhsa_kernel
	.section	.text._ZN7rocprim17ROCPRIM_400000_NS6detail17trampoline_kernelINS0_14default_configENS1_22reduce_config_selectorIfEEZNS1_11reduce_implILb1ES3_PfS7_fN6thrust23THRUST_200600_302600_NS4plusIfEEEE10hipError_tPvRmT1_T2_T3_mT4_P12ihipStream_tbEUlT_E1_NS1_11comp_targetILNS1_3genE0ELNS1_11target_archE4294967295ELNS1_3gpuE0ELNS1_3repE0EEENS1_30default_config_static_selectorELNS0_4arch9wavefront6targetE0EEEvSF_,"axG",@progbits,_ZN7rocprim17ROCPRIM_400000_NS6detail17trampoline_kernelINS0_14default_configENS1_22reduce_config_selectorIfEEZNS1_11reduce_implILb1ES3_PfS7_fN6thrust23THRUST_200600_302600_NS4plusIfEEEE10hipError_tPvRmT1_T2_T3_mT4_P12ihipStream_tbEUlT_E1_NS1_11comp_targetILNS1_3genE0ELNS1_11target_archE4294967295ELNS1_3gpuE0ELNS1_3repE0EEENS1_30default_config_static_selectorELNS0_4arch9wavefront6targetE0EEEvSF_,comdat
.Lfunc_end9:
	.size	_ZN7rocprim17ROCPRIM_400000_NS6detail17trampoline_kernelINS0_14default_configENS1_22reduce_config_selectorIfEEZNS1_11reduce_implILb1ES3_PfS7_fN6thrust23THRUST_200600_302600_NS4plusIfEEEE10hipError_tPvRmT1_T2_T3_mT4_P12ihipStream_tbEUlT_E1_NS1_11comp_targetILNS1_3genE0ELNS1_11target_archE4294967295ELNS1_3gpuE0ELNS1_3repE0EEENS1_30default_config_static_selectorELNS0_4arch9wavefront6targetE0EEEvSF_, .Lfunc_end9-_ZN7rocprim17ROCPRIM_400000_NS6detail17trampoline_kernelINS0_14default_configENS1_22reduce_config_selectorIfEEZNS1_11reduce_implILb1ES3_PfS7_fN6thrust23THRUST_200600_302600_NS4plusIfEEEE10hipError_tPvRmT1_T2_T3_mT4_P12ihipStream_tbEUlT_E1_NS1_11comp_targetILNS1_3genE0ELNS1_11target_archE4294967295ELNS1_3gpuE0ELNS1_3repE0EEENS1_30default_config_static_selectorELNS0_4arch9wavefront6targetE0EEEvSF_
                                        ; -- End function
	.set _ZN7rocprim17ROCPRIM_400000_NS6detail17trampoline_kernelINS0_14default_configENS1_22reduce_config_selectorIfEEZNS1_11reduce_implILb1ES3_PfS7_fN6thrust23THRUST_200600_302600_NS4plusIfEEEE10hipError_tPvRmT1_T2_T3_mT4_P12ihipStream_tbEUlT_E1_NS1_11comp_targetILNS1_3genE0ELNS1_11target_archE4294967295ELNS1_3gpuE0ELNS1_3repE0EEENS1_30default_config_static_selectorELNS0_4arch9wavefront6targetE0EEEvSF_.num_vgpr, 36
	.set _ZN7rocprim17ROCPRIM_400000_NS6detail17trampoline_kernelINS0_14default_configENS1_22reduce_config_selectorIfEEZNS1_11reduce_implILb1ES3_PfS7_fN6thrust23THRUST_200600_302600_NS4plusIfEEEE10hipError_tPvRmT1_T2_T3_mT4_P12ihipStream_tbEUlT_E1_NS1_11comp_targetILNS1_3genE0ELNS1_11target_archE4294967295ELNS1_3gpuE0ELNS1_3repE0EEENS1_30default_config_static_selectorELNS0_4arch9wavefront6targetE0EEEvSF_.num_agpr, 0
	.set _ZN7rocprim17ROCPRIM_400000_NS6detail17trampoline_kernelINS0_14default_configENS1_22reduce_config_selectorIfEEZNS1_11reduce_implILb1ES3_PfS7_fN6thrust23THRUST_200600_302600_NS4plusIfEEEE10hipError_tPvRmT1_T2_T3_mT4_P12ihipStream_tbEUlT_E1_NS1_11comp_targetILNS1_3genE0ELNS1_11target_archE4294967295ELNS1_3gpuE0ELNS1_3repE0EEENS1_30default_config_static_selectorELNS0_4arch9wavefront6targetE0EEEvSF_.numbered_sgpr, 45
	.set _ZN7rocprim17ROCPRIM_400000_NS6detail17trampoline_kernelINS0_14default_configENS1_22reduce_config_selectorIfEEZNS1_11reduce_implILb1ES3_PfS7_fN6thrust23THRUST_200600_302600_NS4plusIfEEEE10hipError_tPvRmT1_T2_T3_mT4_P12ihipStream_tbEUlT_E1_NS1_11comp_targetILNS1_3genE0ELNS1_11target_archE4294967295ELNS1_3gpuE0ELNS1_3repE0EEENS1_30default_config_static_selectorELNS0_4arch9wavefront6targetE0EEEvSF_.num_named_barrier, 0
	.set _ZN7rocprim17ROCPRIM_400000_NS6detail17trampoline_kernelINS0_14default_configENS1_22reduce_config_selectorIfEEZNS1_11reduce_implILb1ES3_PfS7_fN6thrust23THRUST_200600_302600_NS4plusIfEEEE10hipError_tPvRmT1_T2_T3_mT4_P12ihipStream_tbEUlT_E1_NS1_11comp_targetILNS1_3genE0ELNS1_11target_archE4294967295ELNS1_3gpuE0ELNS1_3repE0EEENS1_30default_config_static_selectorELNS0_4arch9wavefront6targetE0EEEvSF_.private_seg_size, 0
	.set _ZN7rocprim17ROCPRIM_400000_NS6detail17trampoline_kernelINS0_14default_configENS1_22reduce_config_selectorIfEEZNS1_11reduce_implILb1ES3_PfS7_fN6thrust23THRUST_200600_302600_NS4plusIfEEEE10hipError_tPvRmT1_T2_T3_mT4_P12ihipStream_tbEUlT_E1_NS1_11comp_targetILNS1_3genE0ELNS1_11target_archE4294967295ELNS1_3gpuE0ELNS1_3repE0EEENS1_30default_config_static_selectorELNS0_4arch9wavefront6targetE0EEEvSF_.uses_vcc, 1
	.set _ZN7rocprim17ROCPRIM_400000_NS6detail17trampoline_kernelINS0_14default_configENS1_22reduce_config_selectorIfEEZNS1_11reduce_implILb1ES3_PfS7_fN6thrust23THRUST_200600_302600_NS4plusIfEEEE10hipError_tPvRmT1_T2_T3_mT4_P12ihipStream_tbEUlT_E1_NS1_11comp_targetILNS1_3genE0ELNS1_11target_archE4294967295ELNS1_3gpuE0ELNS1_3repE0EEENS1_30default_config_static_selectorELNS0_4arch9wavefront6targetE0EEEvSF_.uses_flat_scratch, 0
	.set _ZN7rocprim17ROCPRIM_400000_NS6detail17trampoline_kernelINS0_14default_configENS1_22reduce_config_selectorIfEEZNS1_11reduce_implILb1ES3_PfS7_fN6thrust23THRUST_200600_302600_NS4plusIfEEEE10hipError_tPvRmT1_T2_T3_mT4_P12ihipStream_tbEUlT_E1_NS1_11comp_targetILNS1_3genE0ELNS1_11target_archE4294967295ELNS1_3gpuE0ELNS1_3repE0EEENS1_30default_config_static_selectorELNS0_4arch9wavefront6targetE0EEEvSF_.has_dyn_sized_stack, 0
	.set _ZN7rocprim17ROCPRIM_400000_NS6detail17trampoline_kernelINS0_14default_configENS1_22reduce_config_selectorIfEEZNS1_11reduce_implILb1ES3_PfS7_fN6thrust23THRUST_200600_302600_NS4plusIfEEEE10hipError_tPvRmT1_T2_T3_mT4_P12ihipStream_tbEUlT_E1_NS1_11comp_targetILNS1_3genE0ELNS1_11target_archE4294967295ELNS1_3gpuE0ELNS1_3repE0EEENS1_30default_config_static_selectorELNS0_4arch9wavefront6targetE0EEEvSF_.has_recursion, 0
	.set _ZN7rocprim17ROCPRIM_400000_NS6detail17trampoline_kernelINS0_14default_configENS1_22reduce_config_selectorIfEEZNS1_11reduce_implILb1ES3_PfS7_fN6thrust23THRUST_200600_302600_NS4plusIfEEEE10hipError_tPvRmT1_T2_T3_mT4_P12ihipStream_tbEUlT_E1_NS1_11comp_targetILNS1_3genE0ELNS1_11target_archE4294967295ELNS1_3gpuE0ELNS1_3repE0EEENS1_30default_config_static_selectorELNS0_4arch9wavefront6targetE0EEEvSF_.has_indirect_call, 0
	.section	.AMDGPU.csdata,"",@progbits
; Kernel info:
; codeLenInByte = 12032
; TotalNumSgprs: 47
; NumVgprs: 36
; ScratchSize: 0
; MemoryBound: 0
; FloatMode: 240
; IeeeMode: 1
; LDSByteSize: 224 bytes/workgroup (compile time only)
; SGPRBlocks: 0
; VGPRBlocks: 2
; NumSGPRsForWavesPerEU: 47
; NumVGPRsForWavesPerEU: 36
; NamedBarCnt: 0
; Occupancy: 16
; WaveLimiterHint : 1
; COMPUTE_PGM_RSRC2:SCRATCH_EN: 0
; COMPUTE_PGM_RSRC2:USER_SGPR: 2
; COMPUTE_PGM_RSRC2:TRAP_HANDLER: 0
; COMPUTE_PGM_RSRC2:TGID_X_EN: 1
; COMPUTE_PGM_RSRC2:TGID_Y_EN: 0
; COMPUTE_PGM_RSRC2:TGID_Z_EN: 0
; COMPUTE_PGM_RSRC2:TIDIG_COMP_CNT: 0
	.section	.text._ZN7rocprim17ROCPRIM_400000_NS6detail17trampoline_kernelINS0_14default_configENS1_22reduce_config_selectorIfEEZNS1_11reduce_implILb1ES3_PfS7_fN6thrust23THRUST_200600_302600_NS4plusIfEEEE10hipError_tPvRmT1_T2_T3_mT4_P12ihipStream_tbEUlT_E1_NS1_11comp_targetILNS1_3genE5ELNS1_11target_archE942ELNS1_3gpuE9ELNS1_3repE0EEENS1_30default_config_static_selectorELNS0_4arch9wavefront6targetE0EEEvSF_,"axG",@progbits,_ZN7rocprim17ROCPRIM_400000_NS6detail17trampoline_kernelINS0_14default_configENS1_22reduce_config_selectorIfEEZNS1_11reduce_implILb1ES3_PfS7_fN6thrust23THRUST_200600_302600_NS4plusIfEEEE10hipError_tPvRmT1_T2_T3_mT4_P12ihipStream_tbEUlT_E1_NS1_11comp_targetILNS1_3genE5ELNS1_11target_archE942ELNS1_3gpuE9ELNS1_3repE0EEENS1_30default_config_static_selectorELNS0_4arch9wavefront6targetE0EEEvSF_,comdat
	.protected	_ZN7rocprim17ROCPRIM_400000_NS6detail17trampoline_kernelINS0_14default_configENS1_22reduce_config_selectorIfEEZNS1_11reduce_implILb1ES3_PfS7_fN6thrust23THRUST_200600_302600_NS4plusIfEEEE10hipError_tPvRmT1_T2_T3_mT4_P12ihipStream_tbEUlT_E1_NS1_11comp_targetILNS1_3genE5ELNS1_11target_archE942ELNS1_3gpuE9ELNS1_3repE0EEENS1_30default_config_static_selectorELNS0_4arch9wavefront6targetE0EEEvSF_ ; -- Begin function _ZN7rocprim17ROCPRIM_400000_NS6detail17trampoline_kernelINS0_14default_configENS1_22reduce_config_selectorIfEEZNS1_11reduce_implILb1ES3_PfS7_fN6thrust23THRUST_200600_302600_NS4plusIfEEEE10hipError_tPvRmT1_T2_T3_mT4_P12ihipStream_tbEUlT_E1_NS1_11comp_targetILNS1_3genE5ELNS1_11target_archE942ELNS1_3gpuE9ELNS1_3repE0EEENS1_30default_config_static_selectorELNS0_4arch9wavefront6targetE0EEEvSF_
	.globl	_ZN7rocprim17ROCPRIM_400000_NS6detail17trampoline_kernelINS0_14default_configENS1_22reduce_config_selectorIfEEZNS1_11reduce_implILb1ES3_PfS7_fN6thrust23THRUST_200600_302600_NS4plusIfEEEE10hipError_tPvRmT1_T2_T3_mT4_P12ihipStream_tbEUlT_E1_NS1_11comp_targetILNS1_3genE5ELNS1_11target_archE942ELNS1_3gpuE9ELNS1_3repE0EEENS1_30default_config_static_selectorELNS0_4arch9wavefront6targetE0EEEvSF_
	.p2align	8
	.type	_ZN7rocprim17ROCPRIM_400000_NS6detail17trampoline_kernelINS0_14default_configENS1_22reduce_config_selectorIfEEZNS1_11reduce_implILb1ES3_PfS7_fN6thrust23THRUST_200600_302600_NS4plusIfEEEE10hipError_tPvRmT1_T2_T3_mT4_P12ihipStream_tbEUlT_E1_NS1_11comp_targetILNS1_3genE5ELNS1_11target_archE942ELNS1_3gpuE9ELNS1_3repE0EEENS1_30default_config_static_selectorELNS0_4arch9wavefront6targetE0EEEvSF_,@function
_ZN7rocprim17ROCPRIM_400000_NS6detail17trampoline_kernelINS0_14default_configENS1_22reduce_config_selectorIfEEZNS1_11reduce_implILb1ES3_PfS7_fN6thrust23THRUST_200600_302600_NS4plusIfEEEE10hipError_tPvRmT1_T2_T3_mT4_P12ihipStream_tbEUlT_E1_NS1_11comp_targetILNS1_3genE5ELNS1_11target_archE942ELNS1_3gpuE9ELNS1_3repE0EEENS1_30default_config_static_selectorELNS0_4arch9wavefront6targetE0EEEvSF_: ; @_ZN7rocprim17ROCPRIM_400000_NS6detail17trampoline_kernelINS0_14default_configENS1_22reduce_config_selectorIfEEZNS1_11reduce_implILb1ES3_PfS7_fN6thrust23THRUST_200600_302600_NS4plusIfEEEE10hipError_tPvRmT1_T2_T3_mT4_P12ihipStream_tbEUlT_E1_NS1_11comp_targetILNS1_3genE5ELNS1_11target_archE942ELNS1_3gpuE9ELNS1_3repE0EEENS1_30default_config_static_selectorELNS0_4arch9wavefront6targetE0EEEvSF_
; %bb.0:
	.section	.rodata,"a",@progbits
	.p2align	6, 0x0
	.amdhsa_kernel _ZN7rocprim17ROCPRIM_400000_NS6detail17trampoline_kernelINS0_14default_configENS1_22reduce_config_selectorIfEEZNS1_11reduce_implILb1ES3_PfS7_fN6thrust23THRUST_200600_302600_NS4plusIfEEEE10hipError_tPvRmT1_T2_T3_mT4_P12ihipStream_tbEUlT_E1_NS1_11comp_targetILNS1_3genE5ELNS1_11target_archE942ELNS1_3gpuE9ELNS1_3repE0EEENS1_30default_config_static_selectorELNS0_4arch9wavefront6targetE0EEEvSF_
		.amdhsa_group_segment_fixed_size 0
		.amdhsa_private_segment_fixed_size 0
		.amdhsa_kernarg_size 40
		.amdhsa_user_sgpr_count 2
		.amdhsa_user_sgpr_dispatch_ptr 0
		.amdhsa_user_sgpr_queue_ptr 0
		.amdhsa_user_sgpr_kernarg_segment_ptr 1
		.amdhsa_user_sgpr_dispatch_id 0
		.amdhsa_user_sgpr_kernarg_preload_length 0
		.amdhsa_user_sgpr_kernarg_preload_offset 0
		.amdhsa_user_sgpr_private_segment_size 0
		.amdhsa_wavefront_size32 1
		.amdhsa_uses_dynamic_stack 0
		.amdhsa_enable_private_segment 0
		.amdhsa_system_sgpr_workgroup_id_x 1
		.amdhsa_system_sgpr_workgroup_id_y 0
		.amdhsa_system_sgpr_workgroup_id_z 0
		.amdhsa_system_sgpr_workgroup_info 0
		.amdhsa_system_vgpr_workitem_id 0
		.amdhsa_next_free_vgpr 1
		.amdhsa_next_free_sgpr 1
		.amdhsa_named_barrier_count 0
		.amdhsa_reserve_vcc 0
		.amdhsa_float_round_mode_32 0
		.amdhsa_float_round_mode_16_64 0
		.amdhsa_float_denorm_mode_32 3
		.amdhsa_float_denorm_mode_16_64 3
		.amdhsa_fp16_overflow 0
		.amdhsa_memory_ordered 1
		.amdhsa_forward_progress 1
		.amdhsa_inst_pref_size 0
		.amdhsa_round_robin_scheduling 0
		.amdhsa_exception_fp_ieee_invalid_op 0
		.amdhsa_exception_fp_denorm_src 0
		.amdhsa_exception_fp_ieee_div_zero 0
		.amdhsa_exception_fp_ieee_overflow 0
		.amdhsa_exception_fp_ieee_underflow 0
		.amdhsa_exception_fp_ieee_inexact 0
		.amdhsa_exception_int_div_zero 0
	.end_amdhsa_kernel
	.section	.text._ZN7rocprim17ROCPRIM_400000_NS6detail17trampoline_kernelINS0_14default_configENS1_22reduce_config_selectorIfEEZNS1_11reduce_implILb1ES3_PfS7_fN6thrust23THRUST_200600_302600_NS4plusIfEEEE10hipError_tPvRmT1_T2_T3_mT4_P12ihipStream_tbEUlT_E1_NS1_11comp_targetILNS1_3genE5ELNS1_11target_archE942ELNS1_3gpuE9ELNS1_3repE0EEENS1_30default_config_static_selectorELNS0_4arch9wavefront6targetE0EEEvSF_,"axG",@progbits,_ZN7rocprim17ROCPRIM_400000_NS6detail17trampoline_kernelINS0_14default_configENS1_22reduce_config_selectorIfEEZNS1_11reduce_implILb1ES3_PfS7_fN6thrust23THRUST_200600_302600_NS4plusIfEEEE10hipError_tPvRmT1_T2_T3_mT4_P12ihipStream_tbEUlT_E1_NS1_11comp_targetILNS1_3genE5ELNS1_11target_archE942ELNS1_3gpuE9ELNS1_3repE0EEENS1_30default_config_static_selectorELNS0_4arch9wavefront6targetE0EEEvSF_,comdat
.Lfunc_end10:
	.size	_ZN7rocprim17ROCPRIM_400000_NS6detail17trampoline_kernelINS0_14default_configENS1_22reduce_config_selectorIfEEZNS1_11reduce_implILb1ES3_PfS7_fN6thrust23THRUST_200600_302600_NS4plusIfEEEE10hipError_tPvRmT1_T2_T3_mT4_P12ihipStream_tbEUlT_E1_NS1_11comp_targetILNS1_3genE5ELNS1_11target_archE942ELNS1_3gpuE9ELNS1_3repE0EEENS1_30default_config_static_selectorELNS0_4arch9wavefront6targetE0EEEvSF_, .Lfunc_end10-_ZN7rocprim17ROCPRIM_400000_NS6detail17trampoline_kernelINS0_14default_configENS1_22reduce_config_selectorIfEEZNS1_11reduce_implILb1ES3_PfS7_fN6thrust23THRUST_200600_302600_NS4plusIfEEEE10hipError_tPvRmT1_T2_T3_mT4_P12ihipStream_tbEUlT_E1_NS1_11comp_targetILNS1_3genE5ELNS1_11target_archE942ELNS1_3gpuE9ELNS1_3repE0EEENS1_30default_config_static_selectorELNS0_4arch9wavefront6targetE0EEEvSF_
                                        ; -- End function
	.set _ZN7rocprim17ROCPRIM_400000_NS6detail17trampoline_kernelINS0_14default_configENS1_22reduce_config_selectorIfEEZNS1_11reduce_implILb1ES3_PfS7_fN6thrust23THRUST_200600_302600_NS4plusIfEEEE10hipError_tPvRmT1_T2_T3_mT4_P12ihipStream_tbEUlT_E1_NS1_11comp_targetILNS1_3genE5ELNS1_11target_archE942ELNS1_3gpuE9ELNS1_3repE0EEENS1_30default_config_static_selectorELNS0_4arch9wavefront6targetE0EEEvSF_.num_vgpr, 0
	.set _ZN7rocprim17ROCPRIM_400000_NS6detail17trampoline_kernelINS0_14default_configENS1_22reduce_config_selectorIfEEZNS1_11reduce_implILb1ES3_PfS7_fN6thrust23THRUST_200600_302600_NS4plusIfEEEE10hipError_tPvRmT1_T2_T3_mT4_P12ihipStream_tbEUlT_E1_NS1_11comp_targetILNS1_3genE5ELNS1_11target_archE942ELNS1_3gpuE9ELNS1_3repE0EEENS1_30default_config_static_selectorELNS0_4arch9wavefront6targetE0EEEvSF_.num_agpr, 0
	.set _ZN7rocprim17ROCPRIM_400000_NS6detail17trampoline_kernelINS0_14default_configENS1_22reduce_config_selectorIfEEZNS1_11reduce_implILb1ES3_PfS7_fN6thrust23THRUST_200600_302600_NS4plusIfEEEE10hipError_tPvRmT1_T2_T3_mT4_P12ihipStream_tbEUlT_E1_NS1_11comp_targetILNS1_3genE5ELNS1_11target_archE942ELNS1_3gpuE9ELNS1_3repE0EEENS1_30default_config_static_selectorELNS0_4arch9wavefront6targetE0EEEvSF_.numbered_sgpr, 0
	.set _ZN7rocprim17ROCPRIM_400000_NS6detail17trampoline_kernelINS0_14default_configENS1_22reduce_config_selectorIfEEZNS1_11reduce_implILb1ES3_PfS7_fN6thrust23THRUST_200600_302600_NS4plusIfEEEE10hipError_tPvRmT1_T2_T3_mT4_P12ihipStream_tbEUlT_E1_NS1_11comp_targetILNS1_3genE5ELNS1_11target_archE942ELNS1_3gpuE9ELNS1_3repE0EEENS1_30default_config_static_selectorELNS0_4arch9wavefront6targetE0EEEvSF_.num_named_barrier, 0
	.set _ZN7rocprim17ROCPRIM_400000_NS6detail17trampoline_kernelINS0_14default_configENS1_22reduce_config_selectorIfEEZNS1_11reduce_implILb1ES3_PfS7_fN6thrust23THRUST_200600_302600_NS4plusIfEEEE10hipError_tPvRmT1_T2_T3_mT4_P12ihipStream_tbEUlT_E1_NS1_11comp_targetILNS1_3genE5ELNS1_11target_archE942ELNS1_3gpuE9ELNS1_3repE0EEENS1_30default_config_static_selectorELNS0_4arch9wavefront6targetE0EEEvSF_.private_seg_size, 0
	.set _ZN7rocprim17ROCPRIM_400000_NS6detail17trampoline_kernelINS0_14default_configENS1_22reduce_config_selectorIfEEZNS1_11reduce_implILb1ES3_PfS7_fN6thrust23THRUST_200600_302600_NS4plusIfEEEE10hipError_tPvRmT1_T2_T3_mT4_P12ihipStream_tbEUlT_E1_NS1_11comp_targetILNS1_3genE5ELNS1_11target_archE942ELNS1_3gpuE9ELNS1_3repE0EEENS1_30default_config_static_selectorELNS0_4arch9wavefront6targetE0EEEvSF_.uses_vcc, 0
	.set _ZN7rocprim17ROCPRIM_400000_NS6detail17trampoline_kernelINS0_14default_configENS1_22reduce_config_selectorIfEEZNS1_11reduce_implILb1ES3_PfS7_fN6thrust23THRUST_200600_302600_NS4plusIfEEEE10hipError_tPvRmT1_T2_T3_mT4_P12ihipStream_tbEUlT_E1_NS1_11comp_targetILNS1_3genE5ELNS1_11target_archE942ELNS1_3gpuE9ELNS1_3repE0EEENS1_30default_config_static_selectorELNS0_4arch9wavefront6targetE0EEEvSF_.uses_flat_scratch, 0
	.set _ZN7rocprim17ROCPRIM_400000_NS6detail17trampoline_kernelINS0_14default_configENS1_22reduce_config_selectorIfEEZNS1_11reduce_implILb1ES3_PfS7_fN6thrust23THRUST_200600_302600_NS4plusIfEEEE10hipError_tPvRmT1_T2_T3_mT4_P12ihipStream_tbEUlT_E1_NS1_11comp_targetILNS1_3genE5ELNS1_11target_archE942ELNS1_3gpuE9ELNS1_3repE0EEENS1_30default_config_static_selectorELNS0_4arch9wavefront6targetE0EEEvSF_.has_dyn_sized_stack, 0
	.set _ZN7rocprim17ROCPRIM_400000_NS6detail17trampoline_kernelINS0_14default_configENS1_22reduce_config_selectorIfEEZNS1_11reduce_implILb1ES3_PfS7_fN6thrust23THRUST_200600_302600_NS4plusIfEEEE10hipError_tPvRmT1_T2_T3_mT4_P12ihipStream_tbEUlT_E1_NS1_11comp_targetILNS1_3genE5ELNS1_11target_archE942ELNS1_3gpuE9ELNS1_3repE0EEENS1_30default_config_static_selectorELNS0_4arch9wavefront6targetE0EEEvSF_.has_recursion, 0
	.set _ZN7rocprim17ROCPRIM_400000_NS6detail17trampoline_kernelINS0_14default_configENS1_22reduce_config_selectorIfEEZNS1_11reduce_implILb1ES3_PfS7_fN6thrust23THRUST_200600_302600_NS4plusIfEEEE10hipError_tPvRmT1_T2_T3_mT4_P12ihipStream_tbEUlT_E1_NS1_11comp_targetILNS1_3genE5ELNS1_11target_archE942ELNS1_3gpuE9ELNS1_3repE0EEENS1_30default_config_static_selectorELNS0_4arch9wavefront6targetE0EEEvSF_.has_indirect_call, 0
	.section	.AMDGPU.csdata,"",@progbits
; Kernel info:
; codeLenInByte = 0
; TotalNumSgprs: 0
; NumVgprs: 0
; ScratchSize: 0
; MemoryBound: 0
; FloatMode: 240
; IeeeMode: 1
; LDSByteSize: 0 bytes/workgroup (compile time only)
; SGPRBlocks: 0
; VGPRBlocks: 0
; NumSGPRsForWavesPerEU: 1
; NumVGPRsForWavesPerEU: 1
; NamedBarCnt: 0
; Occupancy: 16
; WaveLimiterHint : 0
; COMPUTE_PGM_RSRC2:SCRATCH_EN: 0
; COMPUTE_PGM_RSRC2:USER_SGPR: 2
; COMPUTE_PGM_RSRC2:TRAP_HANDLER: 0
; COMPUTE_PGM_RSRC2:TGID_X_EN: 1
; COMPUTE_PGM_RSRC2:TGID_Y_EN: 0
; COMPUTE_PGM_RSRC2:TGID_Z_EN: 0
; COMPUTE_PGM_RSRC2:TIDIG_COMP_CNT: 0
	.section	.text._ZN7rocprim17ROCPRIM_400000_NS6detail17trampoline_kernelINS0_14default_configENS1_22reduce_config_selectorIfEEZNS1_11reduce_implILb1ES3_PfS7_fN6thrust23THRUST_200600_302600_NS4plusIfEEEE10hipError_tPvRmT1_T2_T3_mT4_P12ihipStream_tbEUlT_E1_NS1_11comp_targetILNS1_3genE4ELNS1_11target_archE910ELNS1_3gpuE8ELNS1_3repE0EEENS1_30default_config_static_selectorELNS0_4arch9wavefront6targetE0EEEvSF_,"axG",@progbits,_ZN7rocprim17ROCPRIM_400000_NS6detail17trampoline_kernelINS0_14default_configENS1_22reduce_config_selectorIfEEZNS1_11reduce_implILb1ES3_PfS7_fN6thrust23THRUST_200600_302600_NS4plusIfEEEE10hipError_tPvRmT1_T2_T3_mT4_P12ihipStream_tbEUlT_E1_NS1_11comp_targetILNS1_3genE4ELNS1_11target_archE910ELNS1_3gpuE8ELNS1_3repE0EEENS1_30default_config_static_selectorELNS0_4arch9wavefront6targetE0EEEvSF_,comdat
	.protected	_ZN7rocprim17ROCPRIM_400000_NS6detail17trampoline_kernelINS0_14default_configENS1_22reduce_config_selectorIfEEZNS1_11reduce_implILb1ES3_PfS7_fN6thrust23THRUST_200600_302600_NS4plusIfEEEE10hipError_tPvRmT1_T2_T3_mT4_P12ihipStream_tbEUlT_E1_NS1_11comp_targetILNS1_3genE4ELNS1_11target_archE910ELNS1_3gpuE8ELNS1_3repE0EEENS1_30default_config_static_selectorELNS0_4arch9wavefront6targetE0EEEvSF_ ; -- Begin function _ZN7rocprim17ROCPRIM_400000_NS6detail17trampoline_kernelINS0_14default_configENS1_22reduce_config_selectorIfEEZNS1_11reduce_implILb1ES3_PfS7_fN6thrust23THRUST_200600_302600_NS4plusIfEEEE10hipError_tPvRmT1_T2_T3_mT4_P12ihipStream_tbEUlT_E1_NS1_11comp_targetILNS1_3genE4ELNS1_11target_archE910ELNS1_3gpuE8ELNS1_3repE0EEENS1_30default_config_static_selectorELNS0_4arch9wavefront6targetE0EEEvSF_
	.globl	_ZN7rocprim17ROCPRIM_400000_NS6detail17trampoline_kernelINS0_14default_configENS1_22reduce_config_selectorIfEEZNS1_11reduce_implILb1ES3_PfS7_fN6thrust23THRUST_200600_302600_NS4plusIfEEEE10hipError_tPvRmT1_T2_T3_mT4_P12ihipStream_tbEUlT_E1_NS1_11comp_targetILNS1_3genE4ELNS1_11target_archE910ELNS1_3gpuE8ELNS1_3repE0EEENS1_30default_config_static_selectorELNS0_4arch9wavefront6targetE0EEEvSF_
	.p2align	8
	.type	_ZN7rocprim17ROCPRIM_400000_NS6detail17trampoline_kernelINS0_14default_configENS1_22reduce_config_selectorIfEEZNS1_11reduce_implILb1ES3_PfS7_fN6thrust23THRUST_200600_302600_NS4plusIfEEEE10hipError_tPvRmT1_T2_T3_mT4_P12ihipStream_tbEUlT_E1_NS1_11comp_targetILNS1_3genE4ELNS1_11target_archE910ELNS1_3gpuE8ELNS1_3repE0EEENS1_30default_config_static_selectorELNS0_4arch9wavefront6targetE0EEEvSF_,@function
_ZN7rocprim17ROCPRIM_400000_NS6detail17trampoline_kernelINS0_14default_configENS1_22reduce_config_selectorIfEEZNS1_11reduce_implILb1ES3_PfS7_fN6thrust23THRUST_200600_302600_NS4plusIfEEEE10hipError_tPvRmT1_T2_T3_mT4_P12ihipStream_tbEUlT_E1_NS1_11comp_targetILNS1_3genE4ELNS1_11target_archE910ELNS1_3gpuE8ELNS1_3repE0EEENS1_30default_config_static_selectorELNS0_4arch9wavefront6targetE0EEEvSF_: ; @_ZN7rocprim17ROCPRIM_400000_NS6detail17trampoline_kernelINS0_14default_configENS1_22reduce_config_selectorIfEEZNS1_11reduce_implILb1ES3_PfS7_fN6thrust23THRUST_200600_302600_NS4plusIfEEEE10hipError_tPvRmT1_T2_T3_mT4_P12ihipStream_tbEUlT_E1_NS1_11comp_targetILNS1_3genE4ELNS1_11target_archE910ELNS1_3gpuE8ELNS1_3repE0EEENS1_30default_config_static_selectorELNS0_4arch9wavefront6targetE0EEEvSF_
; %bb.0:
	.section	.rodata,"a",@progbits
	.p2align	6, 0x0
	.amdhsa_kernel _ZN7rocprim17ROCPRIM_400000_NS6detail17trampoline_kernelINS0_14default_configENS1_22reduce_config_selectorIfEEZNS1_11reduce_implILb1ES3_PfS7_fN6thrust23THRUST_200600_302600_NS4plusIfEEEE10hipError_tPvRmT1_T2_T3_mT4_P12ihipStream_tbEUlT_E1_NS1_11comp_targetILNS1_3genE4ELNS1_11target_archE910ELNS1_3gpuE8ELNS1_3repE0EEENS1_30default_config_static_selectorELNS0_4arch9wavefront6targetE0EEEvSF_
		.amdhsa_group_segment_fixed_size 0
		.amdhsa_private_segment_fixed_size 0
		.amdhsa_kernarg_size 40
		.amdhsa_user_sgpr_count 2
		.amdhsa_user_sgpr_dispatch_ptr 0
		.amdhsa_user_sgpr_queue_ptr 0
		.amdhsa_user_sgpr_kernarg_segment_ptr 1
		.amdhsa_user_sgpr_dispatch_id 0
		.amdhsa_user_sgpr_kernarg_preload_length 0
		.amdhsa_user_sgpr_kernarg_preload_offset 0
		.amdhsa_user_sgpr_private_segment_size 0
		.amdhsa_wavefront_size32 1
		.amdhsa_uses_dynamic_stack 0
		.amdhsa_enable_private_segment 0
		.amdhsa_system_sgpr_workgroup_id_x 1
		.amdhsa_system_sgpr_workgroup_id_y 0
		.amdhsa_system_sgpr_workgroup_id_z 0
		.amdhsa_system_sgpr_workgroup_info 0
		.amdhsa_system_vgpr_workitem_id 0
		.amdhsa_next_free_vgpr 1
		.amdhsa_next_free_sgpr 1
		.amdhsa_named_barrier_count 0
		.amdhsa_reserve_vcc 0
		.amdhsa_float_round_mode_32 0
		.amdhsa_float_round_mode_16_64 0
		.amdhsa_float_denorm_mode_32 3
		.amdhsa_float_denorm_mode_16_64 3
		.amdhsa_fp16_overflow 0
		.amdhsa_memory_ordered 1
		.amdhsa_forward_progress 1
		.amdhsa_inst_pref_size 0
		.amdhsa_round_robin_scheduling 0
		.amdhsa_exception_fp_ieee_invalid_op 0
		.amdhsa_exception_fp_denorm_src 0
		.amdhsa_exception_fp_ieee_div_zero 0
		.amdhsa_exception_fp_ieee_overflow 0
		.amdhsa_exception_fp_ieee_underflow 0
		.amdhsa_exception_fp_ieee_inexact 0
		.amdhsa_exception_int_div_zero 0
	.end_amdhsa_kernel
	.section	.text._ZN7rocprim17ROCPRIM_400000_NS6detail17trampoline_kernelINS0_14default_configENS1_22reduce_config_selectorIfEEZNS1_11reduce_implILb1ES3_PfS7_fN6thrust23THRUST_200600_302600_NS4plusIfEEEE10hipError_tPvRmT1_T2_T3_mT4_P12ihipStream_tbEUlT_E1_NS1_11comp_targetILNS1_3genE4ELNS1_11target_archE910ELNS1_3gpuE8ELNS1_3repE0EEENS1_30default_config_static_selectorELNS0_4arch9wavefront6targetE0EEEvSF_,"axG",@progbits,_ZN7rocprim17ROCPRIM_400000_NS6detail17trampoline_kernelINS0_14default_configENS1_22reduce_config_selectorIfEEZNS1_11reduce_implILb1ES3_PfS7_fN6thrust23THRUST_200600_302600_NS4plusIfEEEE10hipError_tPvRmT1_T2_T3_mT4_P12ihipStream_tbEUlT_E1_NS1_11comp_targetILNS1_3genE4ELNS1_11target_archE910ELNS1_3gpuE8ELNS1_3repE0EEENS1_30default_config_static_selectorELNS0_4arch9wavefront6targetE0EEEvSF_,comdat
.Lfunc_end11:
	.size	_ZN7rocprim17ROCPRIM_400000_NS6detail17trampoline_kernelINS0_14default_configENS1_22reduce_config_selectorIfEEZNS1_11reduce_implILb1ES3_PfS7_fN6thrust23THRUST_200600_302600_NS4plusIfEEEE10hipError_tPvRmT1_T2_T3_mT4_P12ihipStream_tbEUlT_E1_NS1_11comp_targetILNS1_3genE4ELNS1_11target_archE910ELNS1_3gpuE8ELNS1_3repE0EEENS1_30default_config_static_selectorELNS0_4arch9wavefront6targetE0EEEvSF_, .Lfunc_end11-_ZN7rocprim17ROCPRIM_400000_NS6detail17trampoline_kernelINS0_14default_configENS1_22reduce_config_selectorIfEEZNS1_11reduce_implILb1ES3_PfS7_fN6thrust23THRUST_200600_302600_NS4plusIfEEEE10hipError_tPvRmT1_T2_T3_mT4_P12ihipStream_tbEUlT_E1_NS1_11comp_targetILNS1_3genE4ELNS1_11target_archE910ELNS1_3gpuE8ELNS1_3repE0EEENS1_30default_config_static_selectorELNS0_4arch9wavefront6targetE0EEEvSF_
                                        ; -- End function
	.set _ZN7rocprim17ROCPRIM_400000_NS6detail17trampoline_kernelINS0_14default_configENS1_22reduce_config_selectorIfEEZNS1_11reduce_implILb1ES3_PfS7_fN6thrust23THRUST_200600_302600_NS4plusIfEEEE10hipError_tPvRmT1_T2_T3_mT4_P12ihipStream_tbEUlT_E1_NS1_11comp_targetILNS1_3genE4ELNS1_11target_archE910ELNS1_3gpuE8ELNS1_3repE0EEENS1_30default_config_static_selectorELNS0_4arch9wavefront6targetE0EEEvSF_.num_vgpr, 0
	.set _ZN7rocprim17ROCPRIM_400000_NS6detail17trampoline_kernelINS0_14default_configENS1_22reduce_config_selectorIfEEZNS1_11reduce_implILb1ES3_PfS7_fN6thrust23THRUST_200600_302600_NS4plusIfEEEE10hipError_tPvRmT1_T2_T3_mT4_P12ihipStream_tbEUlT_E1_NS1_11comp_targetILNS1_3genE4ELNS1_11target_archE910ELNS1_3gpuE8ELNS1_3repE0EEENS1_30default_config_static_selectorELNS0_4arch9wavefront6targetE0EEEvSF_.num_agpr, 0
	.set _ZN7rocprim17ROCPRIM_400000_NS6detail17trampoline_kernelINS0_14default_configENS1_22reduce_config_selectorIfEEZNS1_11reduce_implILb1ES3_PfS7_fN6thrust23THRUST_200600_302600_NS4plusIfEEEE10hipError_tPvRmT1_T2_T3_mT4_P12ihipStream_tbEUlT_E1_NS1_11comp_targetILNS1_3genE4ELNS1_11target_archE910ELNS1_3gpuE8ELNS1_3repE0EEENS1_30default_config_static_selectorELNS0_4arch9wavefront6targetE0EEEvSF_.numbered_sgpr, 0
	.set _ZN7rocprim17ROCPRIM_400000_NS6detail17trampoline_kernelINS0_14default_configENS1_22reduce_config_selectorIfEEZNS1_11reduce_implILb1ES3_PfS7_fN6thrust23THRUST_200600_302600_NS4plusIfEEEE10hipError_tPvRmT1_T2_T3_mT4_P12ihipStream_tbEUlT_E1_NS1_11comp_targetILNS1_3genE4ELNS1_11target_archE910ELNS1_3gpuE8ELNS1_3repE0EEENS1_30default_config_static_selectorELNS0_4arch9wavefront6targetE0EEEvSF_.num_named_barrier, 0
	.set _ZN7rocprim17ROCPRIM_400000_NS6detail17trampoline_kernelINS0_14default_configENS1_22reduce_config_selectorIfEEZNS1_11reduce_implILb1ES3_PfS7_fN6thrust23THRUST_200600_302600_NS4plusIfEEEE10hipError_tPvRmT1_T2_T3_mT4_P12ihipStream_tbEUlT_E1_NS1_11comp_targetILNS1_3genE4ELNS1_11target_archE910ELNS1_3gpuE8ELNS1_3repE0EEENS1_30default_config_static_selectorELNS0_4arch9wavefront6targetE0EEEvSF_.private_seg_size, 0
	.set _ZN7rocprim17ROCPRIM_400000_NS6detail17trampoline_kernelINS0_14default_configENS1_22reduce_config_selectorIfEEZNS1_11reduce_implILb1ES3_PfS7_fN6thrust23THRUST_200600_302600_NS4plusIfEEEE10hipError_tPvRmT1_T2_T3_mT4_P12ihipStream_tbEUlT_E1_NS1_11comp_targetILNS1_3genE4ELNS1_11target_archE910ELNS1_3gpuE8ELNS1_3repE0EEENS1_30default_config_static_selectorELNS0_4arch9wavefront6targetE0EEEvSF_.uses_vcc, 0
	.set _ZN7rocprim17ROCPRIM_400000_NS6detail17trampoline_kernelINS0_14default_configENS1_22reduce_config_selectorIfEEZNS1_11reduce_implILb1ES3_PfS7_fN6thrust23THRUST_200600_302600_NS4plusIfEEEE10hipError_tPvRmT1_T2_T3_mT4_P12ihipStream_tbEUlT_E1_NS1_11comp_targetILNS1_3genE4ELNS1_11target_archE910ELNS1_3gpuE8ELNS1_3repE0EEENS1_30default_config_static_selectorELNS0_4arch9wavefront6targetE0EEEvSF_.uses_flat_scratch, 0
	.set _ZN7rocprim17ROCPRIM_400000_NS6detail17trampoline_kernelINS0_14default_configENS1_22reduce_config_selectorIfEEZNS1_11reduce_implILb1ES3_PfS7_fN6thrust23THRUST_200600_302600_NS4plusIfEEEE10hipError_tPvRmT1_T2_T3_mT4_P12ihipStream_tbEUlT_E1_NS1_11comp_targetILNS1_3genE4ELNS1_11target_archE910ELNS1_3gpuE8ELNS1_3repE0EEENS1_30default_config_static_selectorELNS0_4arch9wavefront6targetE0EEEvSF_.has_dyn_sized_stack, 0
	.set _ZN7rocprim17ROCPRIM_400000_NS6detail17trampoline_kernelINS0_14default_configENS1_22reduce_config_selectorIfEEZNS1_11reduce_implILb1ES3_PfS7_fN6thrust23THRUST_200600_302600_NS4plusIfEEEE10hipError_tPvRmT1_T2_T3_mT4_P12ihipStream_tbEUlT_E1_NS1_11comp_targetILNS1_3genE4ELNS1_11target_archE910ELNS1_3gpuE8ELNS1_3repE0EEENS1_30default_config_static_selectorELNS0_4arch9wavefront6targetE0EEEvSF_.has_recursion, 0
	.set _ZN7rocprim17ROCPRIM_400000_NS6detail17trampoline_kernelINS0_14default_configENS1_22reduce_config_selectorIfEEZNS1_11reduce_implILb1ES3_PfS7_fN6thrust23THRUST_200600_302600_NS4plusIfEEEE10hipError_tPvRmT1_T2_T3_mT4_P12ihipStream_tbEUlT_E1_NS1_11comp_targetILNS1_3genE4ELNS1_11target_archE910ELNS1_3gpuE8ELNS1_3repE0EEENS1_30default_config_static_selectorELNS0_4arch9wavefront6targetE0EEEvSF_.has_indirect_call, 0
	.section	.AMDGPU.csdata,"",@progbits
; Kernel info:
; codeLenInByte = 0
; TotalNumSgprs: 0
; NumVgprs: 0
; ScratchSize: 0
; MemoryBound: 0
; FloatMode: 240
; IeeeMode: 1
; LDSByteSize: 0 bytes/workgroup (compile time only)
; SGPRBlocks: 0
; VGPRBlocks: 0
; NumSGPRsForWavesPerEU: 1
; NumVGPRsForWavesPerEU: 1
; NamedBarCnt: 0
; Occupancy: 16
; WaveLimiterHint : 0
; COMPUTE_PGM_RSRC2:SCRATCH_EN: 0
; COMPUTE_PGM_RSRC2:USER_SGPR: 2
; COMPUTE_PGM_RSRC2:TRAP_HANDLER: 0
; COMPUTE_PGM_RSRC2:TGID_X_EN: 1
; COMPUTE_PGM_RSRC2:TGID_Y_EN: 0
; COMPUTE_PGM_RSRC2:TGID_Z_EN: 0
; COMPUTE_PGM_RSRC2:TIDIG_COMP_CNT: 0
	.section	.text._ZN7rocprim17ROCPRIM_400000_NS6detail17trampoline_kernelINS0_14default_configENS1_22reduce_config_selectorIfEEZNS1_11reduce_implILb1ES3_PfS7_fN6thrust23THRUST_200600_302600_NS4plusIfEEEE10hipError_tPvRmT1_T2_T3_mT4_P12ihipStream_tbEUlT_E1_NS1_11comp_targetILNS1_3genE3ELNS1_11target_archE908ELNS1_3gpuE7ELNS1_3repE0EEENS1_30default_config_static_selectorELNS0_4arch9wavefront6targetE0EEEvSF_,"axG",@progbits,_ZN7rocprim17ROCPRIM_400000_NS6detail17trampoline_kernelINS0_14default_configENS1_22reduce_config_selectorIfEEZNS1_11reduce_implILb1ES3_PfS7_fN6thrust23THRUST_200600_302600_NS4plusIfEEEE10hipError_tPvRmT1_T2_T3_mT4_P12ihipStream_tbEUlT_E1_NS1_11comp_targetILNS1_3genE3ELNS1_11target_archE908ELNS1_3gpuE7ELNS1_3repE0EEENS1_30default_config_static_selectorELNS0_4arch9wavefront6targetE0EEEvSF_,comdat
	.protected	_ZN7rocprim17ROCPRIM_400000_NS6detail17trampoline_kernelINS0_14default_configENS1_22reduce_config_selectorIfEEZNS1_11reduce_implILb1ES3_PfS7_fN6thrust23THRUST_200600_302600_NS4plusIfEEEE10hipError_tPvRmT1_T2_T3_mT4_P12ihipStream_tbEUlT_E1_NS1_11comp_targetILNS1_3genE3ELNS1_11target_archE908ELNS1_3gpuE7ELNS1_3repE0EEENS1_30default_config_static_selectorELNS0_4arch9wavefront6targetE0EEEvSF_ ; -- Begin function _ZN7rocprim17ROCPRIM_400000_NS6detail17trampoline_kernelINS0_14default_configENS1_22reduce_config_selectorIfEEZNS1_11reduce_implILb1ES3_PfS7_fN6thrust23THRUST_200600_302600_NS4plusIfEEEE10hipError_tPvRmT1_T2_T3_mT4_P12ihipStream_tbEUlT_E1_NS1_11comp_targetILNS1_3genE3ELNS1_11target_archE908ELNS1_3gpuE7ELNS1_3repE0EEENS1_30default_config_static_selectorELNS0_4arch9wavefront6targetE0EEEvSF_
	.globl	_ZN7rocprim17ROCPRIM_400000_NS6detail17trampoline_kernelINS0_14default_configENS1_22reduce_config_selectorIfEEZNS1_11reduce_implILb1ES3_PfS7_fN6thrust23THRUST_200600_302600_NS4plusIfEEEE10hipError_tPvRmT1_T2_T3_mT4_P12ihipStream_tbEUlT_E1_NS1_11comp_targetILNS1_3genE3ELNS1_11target_archE908ELNS1_3gpuE7ELNS1_3repE0EEENS1_30default_config_static_selectorELNS0_4arch9wavefront6targetE0EEEvSF_
	.p2align	8
	.type	_ZN7rocprim17ROCPRIM_400000_NS6detail17trampoline_kernelINS0_14default_configENS1_22reduce_config_selectorIfEEZNS1_11reduce_implILb1ES3_PfS7_fN6thrust23THRUST_200600_302600_NS4plusIfEEEE10hipError_tPvRmT1_T2_T3_mT4_P12ihipStream_tbEUlT_E1_NS1_11comp_targetILNS1_3genE3ELNS1_11target_archE908ELNS1_3gpuE7ELNS1_3repE0EEENS1_30default_config_static_selectorELNS0_4arch9wavefront6targetE0EEEvSF_,@function
_ZN7rocprim17ROCPRIM_400000_NS6detail17trampoline_kernelINS0_14default_configENS1_22reduce_config_selectorIfEEZNS1_11reduce_implILb1ES3_PfS7_fN6thrust23THRUST_200600_302600_NS4plusIfEEEE10hipError_tPvRmT1_T2_T3_mT4_P12ihipStream_tbEUlT_E1_NS1_11comp_targetILNS1_3genE3ELNS1_11target_archE908ELNS1_3gpuE7ELNS1_3repE0EEENS1_30default_config_static_selectorELNS0_4arch9wavefront6targetE0EEEvSF_: ; @_ZN7rocprim17ROCPRIM_400000_NS6detail17trampoline_kernelINS0_14default_configENS1_22reduce_config_selectorIfEEZNS1_11reduce_implILb1ES3_PfS7_fN6thrust23THRUST_200600_302600_NS4plusIfEEEE10hipError_tPvRmT1_T2_T3_mT4_P12ihipStream_tbEUlT_E1_NS1_11comp_targetILNS1_3genE3ELNS1_11target_archE908ELNS1_3gpuE7ELNS1_3repE0EEENS1_30default_config_static_selectorELNS0_4arch9wavefront6targetE0EEEvSF_
; %bb.0:
	.section	.rodata,"a",@progbits
	.p2align	6, 0x0
	.amdhsa_kernel _ZN7rocprim17ROCPRIM_400000_NS6detail17trampoline_kernelINS0_14default_configENS1_22reduce_config_selectorIfEEZNS1_11reduce_implILb1ES3_PfS7_fN6thrust23THRUST_200600_302600_NS4plusIfEEEE10hipError_tPvRmT1_T2_T3_mT4_P12ihipStream_tbEUlT_E1_NS1_11comp_targetILNS1_3genE3ELNS1_11target_archE908ELNS1_3gpuE7ELNS1_3repE0EEENS1_30default_config_static_selectorELNS0_4arch9wavefront6targetE0EEEvSF_
		.amdhsa_group_segment_fixed_size 0
		.amdhsa_private_segment_fixed_size 0
		.amdhsa_kernarg_size 40
		.amdhsa_user_sgpr_count 2
		.amdhsa_user_sgpr_dispatch_ptr 0
		.amdhsa_user_sgpr_queue_ptr 0
		.amdhsa_user_sgpr_kernarg_segment_ptr 1
		.amdhsa_user_sgpr_dispatch_id 0
		.amdhsa_user_sgpr_kernarg_preload_length 0
		.amdhsa_user_sgpr_kernarg_preload_offset 0
		.amdhsa_user_sgpr_private_segment_size 0
		.amdhsa_wavefront_size32 1
		.amdhsa_uses_dynamic_stack 0
		.amdhsa_enable_private_segment 0
		.amdhsa_system_sgpr_workgroup_id_x 1
		.amdhsa_system_sgpr_workgroup_id_y 0
		.amdhsa_system_sgpr_workgroup_id_z 0
		.amdhsa_system_sgpr_workgroup_info 0
		.amdhsa_system_vgpr_workitem_id 0
		.amdhsa_next_free_vgpr 1
		.amdhsa_next_free_sgpr 1
		.amdhsa_named_barrier_count 0
		.amdhsa_reserve_vcc 0
		.amdhsa_float_round_mode_32 0
		.amdhsa_float_round_mode_16_64 0
		.amdhsa_float_denorm_mode_32 3
		.amdhsa_float_denorm_mode_16_64 3
		.amdhsa_fp16_overflow 0
		.amdhsa_memory_ordered 1
		.amdhsa_forward_progress 1
		.amdhsa_inst_pref_size 0
		.amdhsa_round_robin_scheduling 0
		.amdhsa_exception_fp_ieee_invalid_op 0
		.amdhsa_exception_fp_denorm_src 0
		.amdhsa_exception_fp_ieee_div_zero 0
		.amdhsa_exception_fp_ieee_overflow 0
		.amdhsa_exception_fp_ieee_underflow 0
		.amdhsa_exception_fp_ieee_inexact 0
		.amdhsa_exception_int_div_zero 0
	.end_amdhsa_kernel
	.section	.text._ZN7rocprim17ROCPRIM_400000_NS6detail17trampoline_kernelINS0_14default_configENS1_22reduce_config_selectorIfEEZNS1_11reduce_implILb1ES3_PfS7_fN6thrust23THRUST_200600_302600_NS4plusIfEEEE10hipError_tPvRmT1_T2_T3_mT4_P12ihipStream_tbEUlT_E1_NS1_11comp_targetILNS1_3genE3ELNS1_11target_archE908ELNS1_3gpuE7ELNS1_3repE0EEENS1_30default_config_static_selectorELNS0_4arch9wavefront6targetE0EEEvSF_,"axG",@progbits,_ZN7rocprim17ROCPRIM_400000_NS6detail17trampoline_kernelINS0_14default_configENS1_22reduce_config_selectorIfEEZNS1_11reduce_implILb1ES3_PfS7_fN6thrust23THRUST_200600_302600_NS4plusIfEEEE10hipError_tPvRmT1_T2_T3_mT4_P12ihipStream_tbEUlT_E1_NS1_11comp_targetILNS1_3genE3ELNS1_11target_archE908ELNS1_3gpuE7ELNS1_3repE0EEENS1_30default_config_static_selectorELNS0_4arch9wavefront6targetE0EEEvSF_,comdat
.Lfunc_end12:
	.size	_ZN7rocprim17ROCPRIM_400000_NS6detail17trampoline_kernelINS0_14default_configENS1_22reduce_config_selectorIfEEZNS1_11reduce_implILb1ES3_PfS7_fN6thrust23THRUST_200600_302600_NS4plusIfEEEE10hipError_tPvRmT1_T2_T3_mT4_P12ihipStream_tbEUlT_E1_NS1_11comp_targetILNS1_3genE3ELNS1_11target_archE908ELNS1_3gpuE7ELNS1_3repE0EEENS1_30default_config_static_selectorELNS0_4arch9wavefront6targetE0EEEvSF_, .Lfunc_end12-_ZN7rocprim17ROCPRIM_400000_NS6detail17trampoline_kernelINS0_14default_configENS1_22reduce_config_selectorIfEEZNS1_11reduce_implILb1ES3_PfS7_fN6thrust23THRUST_200600_302600_NS4plusIfEEEE10hipError_tPvRmT1_T2_T3_mT4_P12ihipStream_tbEUlT_E1_NS1_11comp_targetILNS1_3genE3ELNS1_11target_archE908ELNS1_3gpuE7ELNS1_3repE0EEENS1_30default_config_static_selectorELNS0_4arch9wavefront6targetE0EEEvSF_
                                        ; -- End function
	.set _ZN7rocprim17ROCPRIM_400000_NS6detail17trampoline_kernelINS0_14default_configENS1_22reduce_config_selectorIfEEZNS1_11reduce_implILb1ES3_PfS7_fN6thrust23THRUST_200600_302600_NS4plusIfEEEE10hipError_tPvRmT1_T2_T3_mT4_P12ihipStream_tbEUlT_E1_NS1_11comp_targetILNS1_3genE3ELNS1_11target_archE908ELNS1_3gpuE7ELNS1_3repE0EEENS1_30default_config_static_selectorELNS0_4arch9wavefront6targetE0EEEvSF_.num_vgpr, 0
	.set _ZN7rocprim17ROCPRIM_400000_NS6detail17trampoline_kernelINS0_14default_configENS1_22reduce_config_selectorIfEEZNS1_11reduce_implILb1ES3_PfS7_fN6thrust23THRUST_200600_302600_NS4plusIfEEEE10hipError_tPvRmT1_T2_T3_mT4_P12ihipStream_tbEUlT_E1_NS1_11comp_targetILNS1_3genE3ELNS1_11target_archE908ELNS1_3gpuE7ELNS1_3repE0EEENS1_30default_config_static_selectorELNS0_4arch9wavefront6targetE0EEEvSF_.num_agpr, 0
	.set _ZN7rocprim17ROCPRIM_400000_NS6detail17trampoline_kernelINS0_14default_configENS1_22reduce_config_selectorIfEEZNS1_11reduce_implILb1ES3_PfS7_fN6thrust23THRUST_200600_302600_NS4plusIfEEEE10hipError_tPvRmT1_T2_T3_mT4_P12ihipStream_tbEUlT_E1_NS1_11comp_targetILNS1_3genE3ELNS1_11target_archE908ELNS1_3gpuE7ELNS1_3repE0EEENS1_30default_config_static_selectorELNS0_4arch9wavefront6targetE0EEEvSF_.numbered_sgpr, 0
	.set _ZN7rocprim17ROCPRIM_400000_NS6detail17trampoline_kernelINS0_14default_configENS1_22reduce_config_selectorIfEEZNS1_11reduce_implILb1ES3_PfS7_fN6thrust23THRUST_200600_302600_NS4plusIfEEEE10hipError_tPvRmT1_T2_T3_mT4_P12ihipStream_tbEUlT_E1_NS1_11comp_targetILNS1_3genE3ELNS1_11target_archE908ELNS1_3gpuE7ELNS1_3repE0EEENS1_30default_config_static_selectorELNS0_4arch9wavefront6targetE0EEEvSF_.num_named_barrier, 0
	.set _ZN7rocprim17ROCPRIM_400000_NS6detail17trampoline_kernelINS0_14default_configENS1_22reduce_config_selectorIfEEZNS1_11reduce_implILb1ES3_PfS7_fN6thrust23THRUST_200600_302600_NS4plusIfEEEE10hipError_tPvRmT1_T2_T3_mT4_P12ihipStream_tbEUlT_E1_NS1_11comp_targetILNS1_3genE3ELNS1_11target_archE908ELNS1_3gpuE7ELNS1_3repE0EEENS1_30default_config_static_selectorELNS0_4arch9wavefront6targetE0EEEvSF_.private_seg_size, 0
	.set _ZN7rocprim17ROCPRIM_400000_NS6detail17trampoline_kernelINS0_14default_configENS1_22reduce_config_selectorIfEEZNS1_11reduce_implILb1ES3_PfS7_fN6thrust23THRUST_200600_302600_NS4plusIfEEEE10hipError_tPvRmT1_T2_T3_mT4_P12ihipStream_tbEUlT_E1_NS1_11comp_targetILNS1_3genE3ELNS1_11target_archE908ELNS1_3gpuE7ELNS1_3repE0EEENS1_30default_config_static_selectorELNS0_4arch9wavefront6targetE0EEEvSF_.uses_vcc, 0
	.set _ZN7rocprim17ROCPRIM_400000_NS6detail17trampoline_kernelINS0_14default_configENS1_22reduce_config_selectorIfEEZNS1_11reduce_implILb1ES3_PfS7_fN6thrust23THRUST_200600_302600_NS4plusIfEEEE10hipError_tPvRmT1_T2_T3_mT4_P12ihipStream_tbEUlT_E1_NS1_11comp_targetILNS1_3genE3ELNS1_11target_archE908ELNS1_3gpuE7ELNS1_3repE0EEENS1_30default_config_static_selectorELNS0_4arch9wavefront6targetE0EEEvSF_.uses_flat_scratch, 0
	.set _ZN7rocprim17ROCPRIM_400000_NS6detail17trampoline_kernelINS0_14default_configENS1_22reduce_config_selectorIfEEZNS1_11reduce_implILb1ES3_PfS7_fN6thrust23THRUST_200600_302600_NS4plusIfEEEE10hipError_tPvRmT1_T2_T3_mT4_P12ihipStream_tbEUlT_E1_NS1_11comp_targetILNS1_3genE3ELNS1_11target_archE908ELNS1_3gpuE7ELNS1_3repE0EEENS1_30default_config_static_selectorELNS0_4arch9wavefront6targetE0EEEvSF_.has_dyn_sized_stack, 0
	.set _ZN7rocprim17ROCPRIM_400000_NS6detail17trampoline_kernelINS0_14default_configENS1_22reduce_config_selectorIfEEZNS1_11reduce_implILb1ES3_PfS7_fN6thrust23THRUST_200600_302600_NS4plusIfEEEE10hipError_tPvRmT1_T2_T3_mT4_P12ihipStream_tbEUlT_E1_NS1_11comp_targetILNS1_3genE3ELNS1_11target_archE908ELNS1_3gpuE7ELNS1_3repE0EEENS1_30default_config_static_selectorELNS0_4arch9wavefront6targetE0EEEvSF_.has_recursion, 0
	.set _ZN7rocprim17ROCPRIM_400000_NS6detail17trampoline_kernelINS0_14default_configENS1_22reduce_config_selectorIfEEZNS1_11reduce_implILb1ES3_PfS7_fN6thrust23THRUST_200600_302600_NS4plusIfEEEE10hipError_tPvRmT1_T2_T3_mT4_P12ihipStream_tbEUlT_E1_NS1_11comp_targetILNS1_3genE3ELNS1_11target_archE908ELNS1_3gpuE7ELNS1_3repE0EEENS1_30default_config_static_selectorELNS0_4arch9wavefront6targetE0EEEvSF_.has_indirect_call, 0
	.section	.AMDGPU.csdata,"",@progbits
; Kernel info:
; codeLenInByte = 0
; TotalNumSgprs: 0
; NumVgprs: 0
; ScratchSize: 0
; MemoryBound: 0
; FloatMode: 240
; IeeeMode: 1
; LDSByteSize: 0 bytes/workgroup (compile time only)
; SGPRBlocks: 0
; VGPRBlocks: 0
; NumSGPRsForWavesPerEU: 1
; NumVGPRsForWavesPerEU: 1
; NamedBarCnt: 0
; Occupancy: 16
; WaveLimiterHint : 0
; COMPUTE_PGM_RSRC2:SCRATCH_EN: 0
; COMPUTE_PGM_RSRC2:USER_SGPR: 2
; COMPUTE_PGM_RSRC2:TRAP_HANDLER: 0
; COMPUTE_PGM_RSRC2:TGID_X_EN: 1
; COMPUTE_PGM_RSRC2:TGID_Y_EN: 0
; COMPUTE_PGM_RSRC2:TGID_Z_EN: 0
; COMPUTE_PGM_RSRC2:TIDIG_COMP_CNT: 0
	.section	.text._ZN7rocprim17ROCPRIM_400000_NS6detail17trampoline_kernelINS0_14default_configENS1_22reduce_config_selectorIfEEZNS1_11reduce_implILb1ES3_PfS7_fN6thrust23THRUST_200600_302600_NS4plusIfEEEE10hipError_tPvRmT1_T2_T3_mT4_P12ihipStream_tbEUlT_E1_NS1_11comp_targetILNS1_3genE2ELNS1_11target_archE906ELNS1_3gpuE6ELNS1_3repE0EEENS1_30default_config_static_selectorELNS0_4arch9wavefront6targetE0EEEvSF_,"axG",@progbits,_ZN7rocprim17ROCPRIM_400000_NS6detail17trampoline_kernelINS0_14default_configENS1_22reduce_config_selectorIfEEZNS1_11reduce_implILb1ES3_PfS7_fN6thrust23THRUST_200600_302600_NS4plusIfEEEE10hipError_tPvRmT1_T2_T3_mT4_P12ihipStream_tbEUlT_E1_NS1_11comp_targetILNS1_3genE2ELNS1_11target_archE906ELNS1_3gpuE6ELNS1_3repE0EEENS1_30default_config_static_selectorELNS0_4arch9wavefront6targetE0EEEvSF_,comdat
	.protected	_ZN7rocprim17ROCPRIM_400000_NS6detail17trampoline_kernelINS0_14default_configENS1_22reduce_config_selectorIfEEZNS1_11reduce_implILb1ES3_PfS7_fN6thrust23THRUST_200600_302600_NS4plusIfEEEE10hipError_tPvRmT1_T2_T3_mT4_P12ihipStream_tbEUlT_E1_NS1_11comp_targetILNS1_3genE2ELNS1_11target_archE906ELNS1_3gpuE6ELNS1_3repE0EEENS1_30default_config_static_selectorELNS0_4arch9wavefront6targetE0EEEvSF_ ; -- Begin function _ZN7rocprim17ROCPRIM_400000_NS6detail17trampoline_kernelINS0_14default_configENS1_22reduce_config_selectorIfEEZNS1_11reduce_implILb1ES3_PfS7_fN6thrust23THRUST_200600_302600_NS4plusIfEEEE10hipError_tPvRmT1_T2_T3_mT4_P12ihipStream_tbEUlT_E1_NS1_11comp_targetILNS1_3genE2ELNS1_11target_archE906ELNS1_3gpuE6ELNS1_3repE0EEENS1_30default_config_static_selectorELNS0_4arch9wavefront6targetE0EEEvSF_
	.globl	_ZN7rocprim17ROCPRIM_400000_NS6detail17trampoline_kernelINS0_14default_configENS1_22reduce_config_selectorIfEEZNS1_11reduce_implILb1ES3_PfS7_fN6thrust23THRUST_200600_302600_NS4plusIfEEEE10hipError_tPvRmT1_T2_T3_mT4_P12ihipStream_tbEUlT_E1_NS1_11comp_targetILNS1_3genE2ELNS1_11target_archE906ELNS1_3gpuE6ELNS1_3repE0EEENS1_30default_config_static_selectorELNS0_4arch9wavefront6targetE0EEEvSF_
	.p2align	8
	.type	_ZN7rocprim17ROCPRIM_400000_NS6detail17trampoline_kernelINS0_14default_configENS1_22reduce_config_selectorIfEEZNS1_11reduce_implILb1ES3_PfS7_fN6thrust23THRUST_200600_302600_NS4plusIfEEEE10hipError_tPvRmT1_T2_T3_mT4_P12ihipStream_tbEUlT_E1_NS1_11comp_targetILNS1_3genE2ELNS1_11target_archE906ELNS1_3gpuE6ELNS1_3repE0EEENS1_30default_config_static_selectorELNS0_4arch9wavefront6targetE0EEEvSF_,@function
_ZN7rocprim17ROCPRIM_400000_NS6detail17trampoline_kernelINS0_14default_configENS1_22reduce_config_selectorIfEEZNS1_11reduce_implILb1ES3_PfS7_fN6thrust23THRUST_200600_302600_NS4plusIfEEEE10hipError_tPvRmT1_T2_T3_mT4_P12ihipStream_tbEUlT_E1_NS1_11comp_targetILNS1_3genE2ELNS1_11target_archE906ELNS1_3gpuE6ELNS1_3repE0EEENS1_30default_config_static_selectorELNS0_4arch9wavefront6targetE0EEEvSF_: ; @_ZN7rocprim17ROCPRIM_400000_NS6detail17trampoline_kernelINS0_14default_configENS1_22reduce_config_selectorIfEEZNS1_11reduce_implILb1ES3_PfS7_fN6thrust23THRUST_200600_302600_NS4plusIfEEEE10hipError_tPvRmT1_T2_T3_mT4_P12ihipStream_tbEUlT_E1_NS1_11comp_targetILNS1_3genE2ELNS1_11target_archE906ELNS1_3gpuE6ELNS1_3repE0EEENS1_30default_config_static_selectorELNS0_4arch9wavefront6targetE0EEEvSF_
; %bb.0:
	.section	.rodata,"a",@progbits
	.p2align	6, 0x0
	.amdhsa_kernel _ZN7rocprim17ROCPRIM_400000_NS6detail17trampoline_kernelINS0_14default_configENS1_22reduce_config_selectorIfEEZNS1_11reduce_implILb1ES3_PfS7_fN6thrust23THRUST_200600_302600_NS4plusIfEEEE10hipError_tPvRmT1_T2_T3_mT4_P12ihipStream_tbEUlT_E1_NS1_11comp_targetILNS1_3genE2ELNS1_11target_archE906ELNS1_3gpuE6ELNS1_3repE0EEENS1_30default_config_static_selectorELNS0_4arch9wavefront6targetE0EEEvSF_
		.amdhsa_group_segment_fixed_size 0
		.amdhsa_private_segment_fixed_size 0
		.amdhsa_kernarg_size 40
		.amdhsa_user_sgpr_count 2
		.amdhsa_user_sgpr_dispatch_ptr 0
		.amdhsa_user_sgpr_queue_ptr 0
		.amdhsa_user_sgpr_kernarg_segment_ptr 1
		.amdhsa_user_sgpr_dispatch_id 0
		.amdhsa_user_sgpr_kernarg_preload_length 0
		.amdhsa_user_sgpr_kernarg_preload_offset 0
		.amdhsa_user_sgpr_private_segment_size 0
		.amdhsa_wavefront_size32 1
		.amdhsa_uses_dynamic_stack 0
		.amdhsa_enable_private_segment 0
		.amdhsa_system_sgpr_workgroup_id_x 1
		.amdhsa_system_sgpr_workgroup_id_y 0
		.amdhsa_system_sgpr_workgroup_id_z 0
		.amdhsa_system_sgpr_workgroup_info 0
		.amdhsa_system_vgpr_workitem_id 0
		.amdhsa_next_free_vgpr 1
		.amdhsa_next_free_sgpr 1
		.amdhsa_named_barrier_count 0
		.amdhsa_reserve_vcc 0
		.amdhsa_float_round_mode_32 0
		.amdhsa_float_round_mode_16_64 0
		.amdhsa_float_denorm_mode_32 3
		.amdhsa_float_denorm_mode_16_64 3
		.amdhsa_fp16_overflow 0
		.amdhsa_memory_ordered 1
		.amdhsa_forward_progress 1
		.amdhsa_inst_pref_size 0
		.amdhsa_round_robin_scheduling 0
		.amdhsa_exception_fp_ieee_invalid_op 0
		.amdhsa_exception_fp_denorm_src 0
		.amdhsa_exception_fp_ieee_div_zero 0
		.amdhsa_exception_fp_ieee_overflow 0
		.amdhsa_exception_fp_ieee_underflow 0
		.amdhsa_exception_fp_ieee_inexact 0
		.amdhsa_exception_int_div_zero 0
	.end_amdhsa_kernel
	.section	.text._ZN7rocprim17ROCPRIM_400000_NS6detail17trampoline_kernelINS0_14default_configENS1_22reduce_config_selectorIfEEZNS1_11reduce_implILb1ES3_PfS7_fN6thrust23THRUST_200600_302600_NS4plusIfEEEE10hipError_tPvRmT1_T2_T3_mT4_P12ihipStream_tbEUlT_E1_NS1_11comp_targetILNS1_3genE2ELNS1_11target_archE906ELNS1_3gpuE6ELNS1_3repE0EEENS1_30default_config_static_selectorELNS0_4arch9wavefront6targetE0EEEvSF_,"axG",@progbits,_ZN7rocprim17ROCPRIM_400000_NS6detail17trampoline_kernelINS0_14default_configENS1_22reduce_config_selectorIfEEZNS1_11reduce_implILb1ES3_PfS7_fN6thrust23THRUST_200600_302600_NS4plusIfEEEE10hipError_tPvRmT1_T2_T3_mT4_P12ihipStream_tbEUlT_E1_NS1_11comp_targetILNS1_3genE2ELNS1_11target_archE906ELNS1_3gpuE6ELNS1_3repE0EEENS1_30default_config_static_selectorELNS0_4arch9wavefront6targetE0EEEvSF_,comdat
.Lfunc_end13:
	.size	_ZN7rocprim17ROCPRIM_400000_NS6detail17trampoline_kernelINS0_14default_configENS1_22reduce_config_selectorIfEEZNS1_11reduce_implILb1ES3_PfS7_fN6thrust23THRUST_200600_302600_NS4plusIfEEEE10hipError_tPvRmT1_T2_T3_mT4_P12ihipStream_tbEUlT_E1_NS1_11comp_targetILNS1_3genE2ELNS1_11target_archE906ELNS1_3gpuE6ELNS1_3repE0EEENS1_30default_config_static_selectorELNS0_4arch9wavefront6targetE0EEEvSF_, .Lfunc_end13-_ZN7rocprim17ROCPRIM_400000_NS6detail17trampoline_kernelINS0_14default_configENS1_22reduce_config_selectorIfEEZNS1_11reduce_implILb1ES3_PfS7_fN6thrust23THRUST_200600_302600_NS4plusIfEEEE10hipError_tPvRmT1_T2_T3_mT4_P12ihipStream_tbEUlT_E1_NS1_11comp_targetILNS1_3genE2ELNS1_11target_archE906ELNS1_3gpuE6ELNS1_3repE0EEENS1_30default_config_static_selectorELNS0_4arch9wavefront6targetE0EEEvSF_
                                        ; -- End function
	.set _ZN7rocprim17ROCPRIM_400000_NS6detail17trampoline_kernelINS0_14default_configENS1_22reduce_config_selectorIfEEZNS1_11reduce_implILb1ES3_PfS7_fN6thrust23THRUST_200600_302600_NS4plusIfEEEE10hipError_tPvRmT1_T2_T3_mT4_P12ihipStream_tbEUlT_E1_NS1_11comp_targetILNS1_3genE2ELNS1_11target_archE906ELNS1_3gpuE6ELNS1_3repE0EEENS1_30default_config_static_selectorELNS0_4arch9wavefront6targetE0EEEvSF_.num_vgpr, 0
	.set _ZN7rocprim17ROCPRIM_400000_NS6detail17trampoline_kernelINS0_14default_configENS1_22reduce_config_selectorIfEEZNS1_11reduce_implILb1ES3_PfS7_fN6thrust23THRUST_200600_302600_NS4plusIfEEEE10hipError_tPvRmT1_T2_T3_mT4_P12ihipStream_tbEUlT_E1_NS1_11comp_targetILNS1_3genE2ELNS1_11target_archE906ELNS1_3gpuE6ELNS1_3repE0EEENS1_30default_config_static_selectorELNS0_4arch9wavefront6targetE0EEEvSF_.num_agpr, 0
	.set _ZN7rocprim17ROCPRIM_400000_NS6detail17trampoline_kernelINS0_14default_configENS1_22reduce_config_selectorIfEEZNS1_11reduce_implILb1ES3_PfS7_fN6thrust23THRUST_200600_302600_NS4plusIfEEEE10hipError_tPvRmT1_T2_T3_mT4_P12ihipStream_tbEUlT_E1_NS1_11comp_targetILNS1_3genE2ELNS1_11target_archE906ELNS1_3gpuE6ELNS1_3repE0EEENS1_30default_config_static_selectorELNS0_4arch9wavefront6targetE0EEEvSF_.numbered_sgpr, 0
	.set _ZN7rocprim17ROCPRIM_400000_NS6detail17trampoline_kernelINS0_14default_configENS1_22reduce_config_selectorIfEEZNS1_11reduce_implILb1ES3_PfS7_fN6thrust23THRUST_200600_302600_NS4plusIfEEEE10hipError_tPvRmT1_T2_T3_mT4_P12ihipStream_tbEUlT_E1_NS1_11comp_targetILNS1_3genE2ELNS1_11target_archE906ELNS1_3gpuE6ELNS1_3repE0EEENS1_30default_config_static_selectorELNS0_4arch9wavefront6targetE0EEEvSF_.num_named_barrier, 0
	.set _ZN7rocprim17ROCPRIM_400000_NS6detail17trampoline_kernelINS0_14default_configENS1_22reduce_config_selectorIfEEZNS1_11reduce_implILb1ES3_PfS7_fN6thrust23THRUST_200600_302600_NS4plusIfEEEE10hipError_tPvRmT1_T2_T3_mT4_P12ihipStream_tbEUlT_E1_NS1_11comp_targetILNS1_3genE2ELNS1_11target_archE906ELNS1_3gpuE6ELNS1_3repE0EEENS1_30default_config_static_selectorELNS0_4arch9wavefront6targetE0EEEvSF_.private_seg_size, 0
	.set _ZN7rocprim17ROCPRIM_400000_NS6detail17trampoline_kernelINS0_14default_configENS1_22reduce_config_selectorIfEEZNS1_11reduce_implILb1ES3_PfS7_fN6thrust23THRUST_200600_302600_NS4plusIfEEEE10hipError_tPvRmT1_T2_T3_mT4_P12ihipStream_tbEUlT_E1_NS1_11comp_targetILNS1_3genE2ELNS1_11target_archE906ELNS1_3gpuE6ELNS1_3repE0EEENS1_30default_config_static_selectorELNS0_4arch9wavefront6targetE0EEEvSF_.uses_vcc, 0
	.set _ZN7rocprim17ROCPRIM_400000_NS6detail17trampoline_kernelINS0_14default_configENS1_22reduce_config_selectorIfEEZNS1_11reduce_implILb1ES3_PfS7_fN6thrust23THRUST_200600_302600_NS4plusIfEEEE10hipError_tPvRmT1_T2_T3_mT4_P12ihipStream_tbEUlT_E1_NS1_11comp_targetILNS1_3genE2ELNS1_11target_archE906ELNS1_3gpuE6ELNS1_3repE0EEENS1_30default_config_static_selectorELNS0_4arch9wavefront6targetE0EEEvSF_.uses_flat_scratch, 0
	.set _ZN7rocprim17ROCPRIM_400000_NS6detail17trampoline_kernelINS0_14default_configENS1_22reduce_config_selectorIfEEZNS1_11reduce_implILb1ES3_PfS7_fN6thrust23THRUST_200600_302600_NS4plusIfEEEE10hipError_tPvRmT1_T2_T3_mT4_P12ihipStream_tbEUlT_E1_NS1_11comp_targetILNS1_3genE2ELNS1_11target_archE906ELNS1_3gpuE6ELNS1_3repE0EEENS1_30default_config_static_selectorELNS0_4arch9wavefront6targetE0EEEvSF_.has_dyn_sized_stack, 0
	.set _ZN7rocprim17ROCPRIM_400000_NS6detail17trampoline_kernelINS0_14default_configENS1_22reduce_config_selectorIfEEZNS1_11reduce_implILb1ES3_PfS7_fN6thrust23THRUST_200600_302600_NS4plusIfEEEE10hipError_tPvRmT1_T2_T3_mT4_P12ihipStream_tbEUlT_E1_NS1_11comp_targetILNS1_3genE2ELNS1_11target_archE906ELNS1_3gpuE6ELNS1_3repE0EEENS1_30default_config_static_selectorELNS0_4arch9wavefront6targetE0EEEvSF_.has_recursion, 0
	.set _ZN7rocprim17ROCPRIM_400000_NS6detail17trampoline_kernelINS0_14default_configENS1_22reduce_config_selectorIfEEZNS1_11reduce_implILb1ES3_PfS7_fN6thrust23THRUST_200600_302600_NS4plusIfEEEE10hipError_tPvRmT1_T2_T3_mT4_P12ihipStream_tbEUlT_E1_NS1_11comp_targetILNS1_3genE2ELNS1_11target_archE906ELNS1_3gpuE6ELNS1_3repE0EEENS1_30default_config_static_selectorELNS0_4arch9wavefront6targetE0EEEvSF_.has_indirect_call, 0
	.section	.AMDGPU.csdata,"",@progbits
; Kernel info:
; codeLenInByte = 0
; TotalNumSgprs: 0
; NumVgprs: 0
; ScratchSize: 0
; MemoryBound: 0
; FloatMode: 240
; IeeeMode: 1
; LDSByteSize: 0 bytes/workgroup (compile time only)
; SGPRBlocks: 0
; VGPRBlocks: 0
; NumSGPRsForWavesPerEU: 1
; NumVGPRsForWavesPerEU: 1
; NamedBarCnt: 0
; Occupancy: 16
; WaveLimiterHint : 0
; COMPUTE_PGM_RSRC2:SCRATCH_EN: 0
; COMPUTE_PGM_RSRC2:USER_SGPR: 2
; COMPUTE_PGM_RSRC2:TRAP_HANDLER: 0
; COMPUTE_PGM_RSRC2:TGID_X_EN: 1
; COMPUTE_PGM_RSRC2:TGID_Y_EN: 0
; COMPUTE_PGM_RSRC2:TGID_Z_EN: 0
; COMPUTE_PGM_RSRC2:TIDIG_COMP_CNT: 0
	.section	.text._ZN7rocprim17ROCPRIM_400000_NS6detail17trampoline_kernelINS0_14default_configENS1_22reduce_config_selectorIfEEZNS1_11reduce_implILb1ES3_PfS7_fN6thrust23THRUST_200600_302600_NS4plusIfEEEE10hipError_tPvRmT1_T2_T3_mT4_P12ihipStream_tbEUlT_E1_NS1_11comp_targetILNS1_3genE10ELNS1_11target_archE1201ELNS1_3gpuE5ELNS1_3repE0EEENS1_30default_config_static_selectorELNS0_4arch9wavefront6targetE0EEEvSF_,"axG",@progbits,_ZN7rocprim17ROCPRIM_400000_NS6detail17trampoline_kernelINS0_14default_configENS1_22reduce_config_selectorIfEEZNS1_11reduce_implILb1ES3_PfS7_fN6thrust23THRUST_200600_302600_NS4plusIfEEEE10hipError_tPvRmT1_T2_T3_mT4_P12ihipStream_tbEUlT_E1_NS1_11comp_targetILNS1_3genE10ELNS1_11target_archE1201ELNS1_3gpuE5ELNS1_3repE0EEENS1_30default_config_static_selectorELNS0_4arch9wavefront6targetE0EEEvSF_,comdat
	.protected	_ZN7rocprim17ROCPRIM_400000_NS6detail17trampoline_kernelINS0_14default_configENS1_22reduce_config_selectorIfEEZNS1_11reduce_implILb1ES3_PfS7_fN6thrust23THRUST_200600_302600_NS4plusIfEEEE10hipError_tPvRmT1_T2_T3_mT4_P12ihipStream_tbEUlT_E1_NS1_11comp_targetILNS1_3genE10ELNS1_11target_archE1201ELNS1_3gpuE5ELNS1_3repE0EEENS1_30default_config_static_selectorELNS0_4arch9wavefront6targetE0EEEvSF_ ; -- Begin function _ZN7rocprim17ROCPRIM_400000_NS6detail17trampoline_kernelINS0_14default_configENS1_22reduce_config_selectorIfEEZNS1_11reduce_implILb1ES3_PfS7_fN6thrust23THRUST_200600_302600_NS4plusIfEEEE10hipError_tPvRmT1_T2_T3_mT4_P12ihipStream_tbEUlT_E1_NS1_11comp_targetILNS1_3genE10ELNS1_11target_archE1201ELNS1_3gpuE5ELNS1_3repE0EEENS1_30default_config_static_selectorELNS0_4arch9wavefront6targetE0EEEvSF_
	.globl	_ZN7rocprim17ROCPRIM_400000_NS6detail17trampoline_kernelINS0_14default_configENS1_22reduce_config_selectorIfEEZNS1_11reduce_implILb1ES3_PfS7_fN6thrust23THRUST_200600_302600_NS4plusIfEEEE10hipError_tPvRmT1_T2_T3_mT4_P12ihipStream_tbEUlT_E1_NS1_11comp_targetILNS1_3genE10ELNS1_11target_archE1201ELNS1_3gpuE5ELNS1_3repE0EEENS1_30default_config_static_selectorELNS0_4arch9wavefront6targetE0EEEvSF_
	.p2align	8
	.type	_ZN7rocprim17ROCPRIM_400000_NS6detail17trampoline_kernelINS0_14default_configENS1_22reduce_config_selectorIfEEZNS1_11reduce_implILb1ES3_PfS7_fN6thrust23THRUST_200600_302600_NS4plusIfEEEE10hipError_tPvRmT1_T2_T3_mT4_P12ihipStream_tbEUlT_E1_NS1_11comp_targetILNS1_3genE10ELNS1_11target_archE1201ELNS1_3gpuE5ELNS1_3repE0EEENS1_30default_config_static_selectorELNS0_4arch9wavefront6targetE0EEEvSF_,@function
_ZN7rocprim17ROCPRIM_400000_NS6detail17trampoline_kernelINS0_14default_configENS1_22reduce_config_selectorIfEEZNS1_11reduce_implILb1ES3_PfS7_fN6thrust23THRUST_200600_302600_NS4plusIfEEEE10hipError_tPvRmT1_T2_T3_mT4_P12ihipStream_tbEUlT_E1_NS1_11comp_targetILNS1_3genE10ELNS1_11target_archE1201ELNS1_3gpuE5ELNS1_3repE0EEENS1_30default_config_static_selectorELNS0_4arch9wavefront6targetE0EEEvSF_: ; @_ZN7rocprim17ROCPRIM_400000_NS6detail17trampoline_kernelINS0_14default_configENS1_22reduce_config_selectorIfEEZNS1_11reduce_implILb1ES3_PfS7_fN6thrust23THRUST_200600_302600_NS4plusIfEEEE10hipError_tPvRmT1_T2_T3_mT4_P12ihipStream_tbEUlT_E1_NS1_11comp_targetILNS1_3genE10ELNS1_11target_archE1201ELNS1_3gpuE5ELNS1_3repE0EEENS1_30default_config_static_selectorELNS0_4arch9wavefront6targetE0EEEvSF_
; %bb.0:
	.section	.rodata,"a",@progbits
	.p2align	6, 0x0
	.amdhsa_kernel _ZN7rocprim17ROCPRIM_400000_NS6detail17trampoline_kernelINS0_14default_configENS1_22reduce_config_selectorIfEEZNS1_11reduce_implILb1ES3_PfS7_fN6thrust23THRUST_200600_302600_NS4plusIfEEEE10hipError_tPvRmT1_T2_T3_mT4_P12ihipStream_tbEUlT_E1_NS1_11comp_targetILNS1_3genE10ELNS1_11target_archE1201ELNS1_3gpuE5ELNS1_3repE0EEENS1_30default_config_static_selectorELNS0_4arch9wavefront6targetE0EEEvSF_
		.amdhsa_group_segment_fixed_size 0
		.amdhsa_private_segment_fixed_size 0
		.amdhsa_kernarg_size 40
		.amdhsa_user_sgpr_count 2
		.amdhsa_user_sgpr_dispatch_ptr 0
		.amdhsa_user_sgpr_queue_ptr 0
		.amdhsa_user_sgpr_kernarg_segment_ptr 1
		.amdhsa_user_sgpr_dispatch_id 0
		.amdhsa_user_sgpr_kernarg_preload_length 0
		.amdhsa_user_sgpr_kernarg_preload_offset 0
		.amdhsa_user_sgpr_private_segment_size 0
		.amdhsa_wavefront_size32 1
		.amdhsa_uses_dynamic_stack 0
		.amdhsa_enable_private_segment 0
		.amdhsa_system_sgpr_workgroup_id_x 1
		.amdhsa_system_sgpr_workgroup_id_y 0
		.amdhsa_system_sgpr_workgroup_id_z 0
		.amdhsa_system_sgpr_workgroup_info 0
		.amdhsa_system_vgpr_workitem_id 0
		.amdhsa_next_free_vgpr 1
		.amdhsa_next_free_sgpr 1
		.amdhsa_named_barrier_count 0
		.amdhsa_reserve_vcc 0
		.amdhsa_float_round_mode_32 0
		.amdhsa_float_round_mode_16_64 0
		.amdhsa_float_denorm_mode_32 3
		.amdhsa_float_denorm_mode_16_64 3
		.amdhsa_fp16_overflow 0
		.amdhsa_memory_ordered 1
		.amdhsa_forward_progress 1
		.amdhsa_inst_pref_size 0
		.amdhsa_round_robin_scheduling 0
		.amdhsa_exception_fp_ieee_invalid_op 0
		.amdhsa_exception_fp_denorm_src 0
		.amdhsa_exception_fp_ieee_div_zero 0
		.amdhsa_exception_fp_ieee_overflow 0
		.amdhsa_exception_fp_ieee_underflow 0
		.amdhsa_exception_fp_ieee_inexact 0
		.amdhsa_exception_int_div_zero 0
	.end_amdhsa_kernel
	.section	.text._ZN7rocprim17ROCPRIM_400000_NS6detail17trampoline_kernelINS0_14default_configENS1_22reduce_config_selectorIfEEZNS1_11reduce_implILb1ES3_PfS7_fN6thrust23THRUST_200600_302600_NS4plusIfEEEE10hipError_tPvRmT1_T2_T3_mT4_P12ihipStream_tbEUlT_E1_NS1_11comp_targetILNS1_3genE10ELNS1_11target_archE1201ELNS1_3gpuE5ELNS1_3repE0EEENS1_30default_config_static_selectorELNS0_4arch9wavefront6targetE0EEEvSF_,"axG",@progbits,_ZN7rocprim17ROCPRIM_400000_NS6detail17trampoline_kernelINS0_14default_configENS1_22reduce_config_selectorIfEEZNS1_11reduce_implILb1ES3_PfS7_fN6thrust23THRUST_200600_302600_NS4plusIfEEEE10hipError_tPvRmT1_T2_T3_mT4_P12ihipStream_tbEUlT_E1_NS1_11comp_targetILNS1_3genE10ELNS1_11target_archE1201ELNS1_3gpuE5ELNS1_3repE0EEENS1_30default_config_static_selectorELNS0_4arch9wavefront6targetE0EEEvSF_,comdat
.Lfunc_end14:
	.size	_ZN7rocprim17ROCPRIM_400000_NS6detail17trampoline_kernelINS0_14default_configENS1_22reduce_config_selectorIfEEZNS1_11reduce_implILb1ES3_PfS7_fN6thrust23THRUST_200600_302600_NS4plusIfEEEE10hipError_tPvRmT1_T2_T3_mT4_P12ihipStream_tbEUlT_E1_NS1_11comp_targetILNS1_3genE10ELNS1_11target_archE1201ELNS1_3gpuE5ELNS1_3repE0EEENS1_30default_config_static_selectorELNS0_4arch9wavefront6targetE0EEEvSF_, .Lfunc_end14-_ZN7rocprim17ROCPRIM_400000_NS6detail17trampoline_kernelINS0_14default_configENS1_22reduce_config_selectorIfEEZNS1_11reduce_implILb1ES3_PfS7_fN6thrust23THRUST_200600_302600_NS4plusIfEEEE10hipError_tPvRmT1_T2_T3_mT4_P12ihipStream_tbEUlT_E1_NS1_11comp_targetILNS1_3genE10ELNS1_11target_archE1201ELNS1_3gpuE5ELNS1_3repE0EEENS1_30default_config_static_selectorELNS0_4arch9wavefront6targetE0EEEvSF_
                                        ; -- End function
	.set _ZN7rocprim17ROCPRIM_400000_NS6detail17trampoline_kernelINS0_14default_configENS1_22reduce_config_selectorIfEEZNS1_11reduce_implILb1ES3_PfS7_fN6thrust23THRUST_200600_302600_NS4plusIfEEEE10hipError_tPvRmT1_T2_T3_mT4_P12ihipStream_tbEUlT_E1_NS1_11comp_targetILNS1_3genE10ELNS1_11target_archE1201ELNS1_3gpuE5ELNS1_3repE0EEENS1_30default_config_static_selectorELNS0_4arch9wavefront6targetE0EEEvSF_.num_vgpr, 0
	.set _ZN7rocprim17ROCPRIM_400000_NS6detail17trampoline_kernelINS0_14default_configENS1_22reduce_config_selectorIfEEZNS1_11reduce_implILb1ES3_PfS7_fN6thrust23THRUST_200600_302600_NS4plusIfEEEE10hipError_tPvRmT1_T2_T3_mT4_P12ihipStream_tbEUlT_E1_NS1_11comp_targetILNS1_3genE10ELNS1_11target_archE1201ELNS1_3gpuE5ELNS1_3repE0EEENS1_30default_config_static_selectorELNS0_4arch9wavefront6targetE0EEEvSF_.num_agpr, 0
	.set _ZN7rocprim17ROCPRIM_400000_NS6detail17trampoline_kernelINS0_14default_configENS1_22reduce_config_selectorIfEEZNS1_11reduce_implILb1ES3_PfS7_fN6thrust23THRUST_200600_302600_NS4plusIfEEEE10hipError_tPvRmT1_T2_T3_mT4_P12ihipStream_tbEUlT_E1_NS1_11comp_targetILNS1_3genE10ELNS1_11target_archE1201ELNS1_3gpuE5ELNS1_3repE0EEENS1_30default_config_static_selectorELNS0_4arch9wavefront6targetE0EEEvSF_.numbered_sgpr, 0
	.set _ZN7rocprim17ROCPRIM_400000_NS6detail17trampoline_kernelINS0_14default_configENS1_22reduce_config_selectorIfEEZNS1_11reduce_implILb1ES3_PfS7_fN6thrust23THRUST_200600_302600_NS4plusIfEEEE10hipError_tPvRmT1_T2_T3_mT4_P12ihipStream_tbEUlT_E1_NS1_11comp_targetILNS1_3genE10ELNS1_11target_archE1201ELNS1_3gpuE5ELNS1_3repE0EEENS1_30default_config_static_selectorELNS0_4arch9wavefront6targetE0EEEvSF_.num_named_barrier, 0
	.set _ZN7rocprim17ROCPRIM_400000_NS6detail17trampoline_kernelINS0_14default_configENS1_22reduce_config_selectorIfEEZNS1_11reduce_implILb1ES3_PfS7_fN6thrust23THRUST_200600_302600_NS4plusIfEEEE10hipError_tPvRmT1_T2_T3_mT4_P12ihipStream_tbEUlT_E1_NS1_11comp_targetILNS1_3genE10ELNS1_11target_archE1201ELNS1_3gpuE5ELNS1_3repE0EEENS1_30default_config_static_selectorELNS0_4arch9wavefront6targetE0EEEvSF_.private_seg_size, 0
	.set _ZN7rocprim17ROCPRIM_400000_NS6detail17trampoline_kernelINS0_14default_configENS1_22reduce_config_selectorIfEEZNS1_11reduce_implILb1ES3_PfS7_fN6thrust23THRUST_200600_302600_NS4plusIfEEEE10hipError_tPvRmT1_T2_T3_mT4_P12ihipStream_tbEUlT_E1_NS1_11comp_targetILNS1_3genE10ELNS1_11target_archE1201ELNS1_3gpuE5ELNS1_3repE0EEENS1_30default_config_static_selectorELNS0_4arch9wavefront6targetE0EEEvSF_.uses_vcc, 0
	.set _ZN7rocprim17ROCPRIM_400000_NS6detail17trampoline_kernelINS0_14default_configENS1_22reduce_config_selectorIfEEZNS1_11reduce_implILb1ES3_PfS7_fN6thrust23THRUST_200600_302600_NS4plusIfEEEE10hipError_tPvRmT1_T2_T3_mT4_P12ihipStream_tbEUlT_E1_NS1_11comp_targetILNS1_3genE10ELNS1_11target_archE1201ELNS1_3gpuE5ELNS1_3repE0EEENS1_30default_config_static_selectorELNS0_4arch9wavefront6targetE0EEEvSF_.uses_flat_scratch, 0
	.set _ZN7rocprim17ROCPRIM_400000_NS6detail17trampoline_kernelINS0_14default_configENS1_22reduce_config_selectorIfEEZNS1_11reduce_implILb1ES3_PfS7_fN6thrust23THRUST_200600_302600_NS4plusIfEEEE10hipError_tPvRmT1_T2_T3_mT4_P12ihipStream_tbEUlT_E1_NS1_11comp_targetILNS1_3genE10ELNS1_11target_archE1201ELNS1_3gpuE5ELNS1_3repE0EEENS1_30default_config_static_selectorELNS0_4arch9wavefront6targetE0EEEvSF_.has_dyn_sized_stack, 0
	.set _ZN7rocprim17ROCPRIM_400000_NS6detail17trampoline_kernelINS0_14default_configENS1_22reduce_config_selectorIfEEZNS1_11reduce_implILb1ES3_PfS7_fN6thrust23THRUST_200600_302600_NS4plusIfEEEE10hipError_tPvRmT1_T2_T3_mT4_P12ihipStream_tbEUlT_E1_NS1_11comp_targetILNS1_3genE10ELNS1_11target_archE1201ELNS1_3gpuE5ELNS1_3repE0EEENS1_30default_config_static_selectorELNS0_4arch9wavefront6targetE0EEEvSF_.has_recursion, 0
	.set _ZN7rocprim17ROCPRIM_400000_NS6detail17trampoline_kernelINS0_14default_configENS1_22reduce_config_selectorIfEEZNS1_11reduce_implILb1ES3_PfS7_fN6thrust23THRUST_200600_302600_NS4plusIfEEEE10hipError_tPvRmT1_T2_T3_mT4_P12ihipStream_tbEUlT_E1_NS1_11comp_targetILNS1_3genE10ELNS1_11target_archE1201ELNS1_3gpuE5ELNS1_3repE0EEENS1_30default_config_static_selectorELNS0_4arch9wavefront6targetE0EEEvSF_.has_indirect_call, 0
	.section	.AMDGPU.csdata,"",@progbits
; Kernel info:
; codeLenInByte = 0
; TotalNumSgprs: 0
; NumVgprs: 0
; ScratchSize: 0
; MemoryBound: 0
; FloatMode: 240
; IeeeMode: 1
; LDSByteSize: 0 bytes/workgroup (compile time only)
; SGPRBlocks: 0
; VGPRBlocks: 0
; NumSGPRsForWavesPerEU: 1
; NumVGPRsForWavesPerEU: 1
; NamedBarCnt: 0
; Occupancy: 16
; WaveLimiterHint : 0
; COMPUTE_PGM_RSRC2:SCRATCH_EN: 0
; COMPUTE_PGM_RSRC2:USER_SGPR: 2
; COMPUTE_PGM_RSRC2:TRAP_HANDLER: 0
; COMPUTE_PGM_RSRC2:TGID_X_EN: 1
; COMPUTE_PGM_RSRC2:TGID_Y_EN: 0
; COMPUTE_PGM_RSRC2:TGID_Z_EN: 0
; COMPUTE_PGM_RSRC2:TIDIG_COMP_CNT: 0
	.section	.text._ZN7rocprim17ROCPRIM_400000_NS6detail17trampoline_kernelINS0_14default_configENS1_22reduce_config_selectorIfEEZNS1_11reduce_implILb1ES3_PfS7_fN6thrust23THRUST_200600_302600_NS4plusIfEEEE10hipError_tPvRmT1_T2_T3_mT4_P12ihipStream_tbEUlT_E1_NS1_11comp_targetILNS1_3genE10ELNS1_11target_archE1200ELNS1_3gpuE4ELNS1_3repE0EEENS1_30default_config_static_selectorELNS0_4arch9wavefront6targetE0EEEvSF_,"axG",@progbits,_ZN7rocprim17ROCPRIM_400000_NS6detail17trampoline_kernelINS0_14default_configENS1_22reduce_config_selectorIfEEZNS1_11reduce_implILb1ES3_PfS7_fN6thrust23THRUST_200600_302600_NS4plusIfEEEE10hipError_tPvRmT1_T2_T3_mT4_P12ihipStream_tbEUlT_E1_NS1_11comp_targetILNS1_3genE10ELNS1_11target_archE1200ELNS1_3gpuE4ELNS1_3repE0EEENS1_30default_config_static_selectorELNS0_4arch9wavefront6targetE0EEEvSF_,comdat
	.protected	_ZN7rocprim17ROCPRIM_400000_NS6detail17trampoline_kernelINS0_14default_configENS1_22reduce_config_selectorIfEEZNS1_11reduce_implILb1ES3_PfS7_fN6thrust23THRUST_200600_302600_NS4plusIfEEEE10hipError_tPvRmT1_T2_T3_mT4_P12ihipStream_tbEUlT_E1_NS1_11comp_targetILNS1_3genE10ELNS1_11target_archE1200ELNS1_3gpuE4ELNS1_3repE0EEENS1_30default_config_static_selectorELNS0_4arch9wavefront6targetE0EEEvSF_ ; -- Begin function _ZN7rocprim17ROCPRIM_400000_NS6detail17trampoline_kernelINS0_14default_configENS1_22reduce_config_selectorIfEEZNS1_11reduce_implILb1ES3_PfS7_fN6thrust23THRUST_200600_302600_NS4plusIfEEEE10hipError_tPvRmT1_T2_T3_mT4_P12ihipStream_tbEUlT_E1_NS1_11comp_targetILNS1_3genE10ELNS1_11target_archE1200ELNS1_3gpuE4ELNS1_3repE0EEENS1_30default_config_static_selectorELNS0_4arch9wavefront6targetE0EEEvSF_
	.globl	_ZN7rocprim17ROCPRIM_400000_NS6detail17trampoline_kernelINS0_14default_configENS1_22reduce_config_selectorIfEEZNS1_11reduce_implILb1ES3_PfS7_fN6thrust23THRUST_200600_302600_NS4plusIfEEEE10hipError_tPvRmT1_T2_T3_mT4_P12ihipStream_tbEUlT_E1_NS1_11comp_targetILNS1_3genE10ELNS1_11target_archE1200ELNS1_3gpuE4ELNS1_3repE0EEENS1_30default_config_static_selectorELNS0_4arch9wavefront6targetE0EEEvSF_
	.p2align	8
	.type	_ZN7rocprim17ROCPRIM_400000_NS6detail17trampoline_kernelINS0_14default_configENS1_22reduce_config_selectorIfEEZNS1_11reduce_implILb1ES3_PfS7_fN6thrust23THRUST_200600_302600_NS4plusIfEEEE10hipError_tPvRmT1_T2_T3_mT4_P12ihipStream_tbEUlT_E1_NS1_11comp_targetILNS1_3genE10ELNS1_11target_archE1200ELNS1_3gpuE4ELNS1_3repE0EEENS1_30default_config_static_selectorELNS0_4arch9wavefront6targetE0EEEvSF_,@function
_ZN7rocprim17ROCPRIM_400000_NS6detail17trampoline_kernelINS0_14default_configENS1_22reduce_config_selectorIfEEZNS1_11reduce_implILb1ES3_PfS7_fN6thrust23THRUST_200600_302600_NS4plusIfEEEE10hipError_tPvRmT1_T2_T3_mT4_P12ihipStream_tbEUlT_E1_NS1_11comp_targetILNS1_3genE10ELNS1_11target_archE1200ELNS1_3gpuE4ELNS1_3repE0EEENS1_30default_config_static_selectorELNS0_4arch9wavefront6targetE0EEEvSF_: ; @_ZN7rocprim17ROCPRIM_400000_NS6detail17trampoline_kernelINS0_14default_configENS1_22reduce_config_selectorIfEEZNS1_11reduce_implILb1ES3_PfS7_fN6thrust23THRUST_200600_302600_NS4plusIfEEEE10hipError_tPvRmT1_T2_T3_mT4_P12ihipStream_tbEUlT_E1_NS1_11comp_targetILNS1_3genE10ELNS1_11target_archE1200ELNS1_3gpuE4ELNS1_3repE0EEENS1_30default_config_static_selectorELNS0_4arch9wavefront6targetE0EEEvSF_
; %bb.0:
	.section	.rodata,"a",@progbits
	.p2align	6, 0x0
	.amdhsa_kernel _ZN7rocprim17ROCPRIM_400000_NS6detail17trampoline_kernelINS0_14default_configENS1_22reduce_config_selectorIfEEZNS1_11reduce_implILb1ES3_PfS7_fN6thrust23THRUST_200600_302600_NS4plusIfEEEE10hipError_tPvRmT1_T2_T3_mT4_P12ihipStream_tbEUlT_E1_NS1_11comp_targetILNS1_3genE10ELNS1_11target_archE1200ELNS1_3gpuE4ELNS1_3repE0EEENS1_30default_config_static_selectorELNS0_4arch9wavefront6targetE0EEEvSF_
		.amdhsa_group_segment_fixed_size 0
		.amdhsa_private_segment_fixed_size 0
		.amdhsa_kernarg_size 40
		.amdhsa_user_sgpr_count 2
		.amdhsa_user_sgpr_dispatch_ptr 0
		.amdhsa_user_sgpr_queue_ptr 0
		.amdhsa_user_sgpr_kernarg_segment_ptr 1
		.amdhsa_user_sgpr_dispatch_id 0
		.amdhsa_user_sgpr_kernarg_preload_length 0
		.amdhsa_user_sgpr_kernarg_preload_offset 0
		.amdhsa_user_sgpr_private_segment_size 0
		.amdhsa_wavefront_size32 1
		.amdhsa_uses_dynamic_stack 0
		.amdhsa_enable_private_segment 0
		.amdhsa_system_sgpr_workgroup_id_x 1
		.amdhsa_system_sgpr_workgroup_id_y 0
		.amdhsa_system_sgpr_workgroup_id_z 0
		.amdhsa_system_sgpr_workgroup_info 0
		.amdhsa_system_vgpr_workitem_id 0
		.amdhsa_next_free_vgpr 1
		.amdhsa_next_free_sgpr 1
		.amdhsa_named_barrier_count 0
		.amdhsa_reserve_vcc 0
		.amdhsa_float_round_mode_32 0
		.amdhsa_float_round_mode_16_64 0
		.amdhsa_float_denorm_mode_32 3
		.amdhsa_float_denorm_mode_16_64 3
		.amdhsa_fp16_overflow 0
		.amdhsa_memory_ordered 1
		.amdhsa_forward_progress 1
		.amdhsa_inst_pref_size 0
		.amdhsa_round_robin_scheduling 0
		.amdhsa_exception_fp_ieee_invalid_op 0
		.amdhsa_exception_fp_denorm_src 0
		.amdhsa_exception_fp_ieee_div_zero 0
		.amdhsa_exception_fp_ieee_overflow 0
		.amdhsa_exception_fp_ieee_underflow 0
		.amdhsa_exception_fp_ieee_inexact 0
		.amdhsa_exception_int_div_zero 0
	.end_amdhsa_kernel
	.section	.text._ZN7rocprim17ROCPRIM_400000_NS6detail17trampoline_kernelINS0_14default_configENS1_22reduce_config_selectorIfEEZNS1_11reduce_implILb1ES3_PfS7_fN6thrust23THRUST_200600_302600_NS4plusIfEEEE10hipError_tPvRmT1_T2_T3_mT4_P12ihipStream_tbEUlT_E1_NS1_11comp_targetILNS1_3genE10ELNS1_11target_archE1200ELNS1_3gpuE4ELNS1_3repE0EEENS1_30default_config_static_selectorELNS0_4arch9wavefront6targetE0EEEvSF_,"axG",@progbits,_ZN7rocprim17ROCPRIM_400000_NS6detail17trampoline_kernelINS0_14default_configENS1_22reduce_config_selectorIfEEZNS1_11reduce_implILb1ES3_PfS7_fN6thrust23THRUST_200600_302600_NS4plusIfEEEE10hipError_tPvRmT1_T2_T3_mT4_P12ihipStream_tbEUlT_E1_NS1_11comp_targetILNS1_3genE10ELNS1_11target_archE1200ELNS1_3gpuE4ELNS1_3repE0EEENS1_30default_config_static_selectorELNS0_4arch9wavefront6targetE0EEEvSF_,comdat
.Lfunc_end15:
	.size	_ZN7rocprim17ROCPRIM_400000_NS6detail17trampoline_kernelINS0_14default_configENS1_22reduce_config_selectorIfEEZNS1_11reduce_implILb1ES3_PfS7_fN6thrust23THRUST_200600_302600_NS4plusIfEEEE10hipError_tPvRmT1_T2_T3_mT4_P12ihipStream_tbEUlT_E1_NS1_11comp_targetILNS1_3genE10ELNS1_11target_archE1200ELNS1_3gpuE4ELNS1_3repE0EEENS1_30default_config_static_selectorELNS0_4arch9wavefront6targetE0EEEvSF_, .Lfunc_end15-_ZN7rocprim17ROCPRIM_400000_NS6detail17trampoline_kernelINS0_14default_configENS1_22reduce_config_selectorIfEEZNS1_11reduce_implILb1ES3_PfS7_fN6thrust23THRUST_200600_302600_NS4plusIfEEEE10hipError_tPvRmT1_T2_T3_mT4_P12ihipStream_tbEUlT_E1_NS1_11comp_targetILNS1_3genE10ELNS1_11target_archE1200ELNS1_3gpuE4ELNS1_3repE0EEENS1_30default_config_static_selectorELNS0_4arch9wavefront6targetE0EEEvSF_
                                        ; -- End function
	.set _ZN7rocprim17ROCPRIM_400000_NS6detail17trampoline_kernelINS0_14default_configENS1_22reduce_config_selectorIfEEZNS1_11reduce_implILb1ES3_PfS7_fN6thrust23THRUST_200600_302600_NS4plusIfEEEE10hipError_tPvRmT1_T2_T3_mT4_P12ihipStream_tbEUlT_E1_NS1_11comp_targetILNS1_3genE10ELNS1_11target_archE1200ELNS1_3gpuE4ELNS1_3repE0EEENS1_30default_config_static_selectorELNS0_4arch9wavefront6targetE0EEEvSF_.num_vgpr, 0
	.set _ZN7rocprim17ROCPRIM_400000_NS6detail17trampoline_kernelINS0_14default_configENS1_22reduce_config_selectorIfEEZNS1_11reduce_implILb1ES3_PfS7_fN6thrust23THRUST_200600_302600_NS4plusIfEEEE10hipError_tPvRmT1_T2_T3_mT4_P12ihipStream_tbEUlT_E1_NS1_11comp_targetILNS1_3genE10ELNS1_11target_archE1200ELNS1_3gpuE4ELNS1_3repE0EEENS1_30default_config_static_selectorELNS0_4arch9wavefront6targetE0EEEvSF_.num_agpr, 0
	.set _ZN7rocprim17ROCPRIM_400000_NS6detail17trampoline_kernelINS0_14default_configENS1_22reduce_config_selectorIfEEZNS1_11reduce_implILb1ES3_PfS7_fN6thrust23THRUST_200600_302600_NS4plusIfEEEE10hipError_tPvRmT1_T2_T3_mT4_P12ihipStream_tbEUlT_E1_NS1_11comp_targetILNS1_3genE10ELNS1_11target_archE1200ELNS1_3gpuE4ELNS1_3repE0EEENS1_30default_config_static_selectorELNS0_4arch9wavefront6targetE0EEEvSF_.numbered_sgpr, 0
	.set _ZN7rocprim17ROCPRIM_400000_NS6detail17trampoline_kernelINS0_14default_configENS1_22reduce_config_selectorIfEEZNS1_11reduce_implILb1ES3_PfS7_fN6thrust23THRUST_200600_302600_NS4plusIfEEEE10hipError_tPvRmT1_T2_T3_mT4_P12ihipStream_tbEUlT_E1_NS1_11comp_targetILNS1_3genE10ELNS1_11target_archE1200ELNS1_3gpuE4ELNS1_3repE0EEENS1_30default_config_static_selectorELNS0_4arch9wavefront6targetE0EEEvSF_.num_named_barrier, 0
	.set _ZN7rocprim17ROCPRIM_400000_NS6detail17trampoline_kernelINS0_14default_configENS1_22reduce_config_selectorIfEEZNS1_11reduce_implILb1ES3_PfS7_fN6thrust23THRUST_200600_302600_NS4plusIfEEEE10hipError_tPvRmT1_T2_T3_mT4_P12ihipStream_tbEUlT_E1_NS1_11comp_targetILNS1_3genE10ELNS1_11target_archE1200ELNS1_3gpuE4ELNS1_3repE0EEENS1_30default_config_static_selectorELNS0_4arch9wavefront6targetE0EEEvSF_.private_seg_size, 0
	.set _ZN7rocprim17ROCPRIM_400000_NS6detail17trampoline_kernelINS0_14default_configENS1_22reduce_config_selectorIfEEZNS1_11reduce_implILb1ES3_PfS7_fN6thrust23THRUST_200600_302600_NS4plusIfEEEE10hipError_tPvRmT1_T2_T3_mT4_P12ihipStream_tbEUlT_E1_NS1_11comp_targetILNS1_3genE10ELNS1_11target_archE1200ELNS1_3gpuE4ELNS1_3repE0EEENS1_30default_config_static_selectorELNS0_4arch9wavefront6targetE0EEEvSF_.uses_vcc, 0
	.set _ZN7rocprim17ROCPRIM_400000_NS6detail17trampoline_kernelINS0_14default_configENS1_22reduce_config_selectorIfEEZNS1_11reduce_implILb1ES3_PfS7_fN6thrust23THRUST_200600_302600_NS4plusIfEEEE10hipError_tPvRmT1_T2_T3_mT4_P12ihipStream_tbEUlT_E1_NS1_11comp_targetILNS1_3genE10ELNS1_11target_archE1200ELNS1_3gpuE4ELNS1_3repE0EEENS1_30default_config_static_selectorELNS0_4arch9wavefront6targetE0EEEvSF_.uses_flat_scratch, 0
	.set _ZN7rocprim17ROCPRIM_400000_NS6detail17trampoline_kernelINS0_14default_configENS1_22reduce_config_selectorIfEEZNS1_11reduce_implILb1ES3_PfS7_fN6thrust23THRUST_200600_302600_NS4plusIfEEEE10hipError_tPvRmT1_T2_T3_mT4_P12ihipStream_tbEUlT_E1_NS1_11comp_targetILNS1_3genE10ELNS1_11target_archE1200ELNS1_3gpuE4ELNS1_3repE0EEENS1_30default_config_static_selectorELNS0_4arch9wavefront6targetE0EEEvSF_.has_dyn_sized_stack, 0
	.set _ZN7rocprim17ROCPRIM_400000_NS6detail17trampoline_kernelINS0_14default_configENS1_22reduce_config_selectorIfEEZNS1_11reduce_implILb1ES3_PfS7_fN6thrust23THRUST_200600_302600_NS4plusIfEEEE10hipError_tPvRmT1_T2_T3_mT4_P12ihipStream_tbEUlT_E1_NS1_11comp_targetILNS1_3genE10ELNS1_11target_archE1200ELNS1_3gpuE4ELNS1_3repE0EEENS1_30default_config_static_selectorELNS0_4arch9wavefront6targetE0EEEvSF_.has_recursion, 0
	.set _ZN7rocprim17ROCPRIM_400000_NS6detail17trampoline_kernelINS0_14default_configENS1_22reduce_config_selectorIfEEZNS1_11reduce_implILb1ES3_PfS7_fN6thrust23THRUST_200600_302600_NS4plusIfEEEE10hipError_tPvRmT1_T2_T3_mT4_P12ihipStream_tbEUlT_E1_NS1_11comp_targetILNS1_3genE10ELNS1_11target_archE1200ELNS1_3gpuE4ELNS1_3repE0EEENS1_30default_config_static_selectorELNS0_4arch9wavefront6targetE0EEEvSF_.has_indirect_call, 0
	.section	.AMDGPU.csdata,"",@progbits
; Kernel info:
; codeLenInByte = 0
; TotalNumSgprs: 0
; NumVgprs: 0
; ScratchSize: 0
; MemoryBound: 0
; FloatMode: 240
; IeeeMode: 1
; LDSByteSize: 0 bytes/workgroup (compile time only)
; SGPRBlocks: 0
; VGPRBlocks: 0
; NumSGPRsForWavesPerEU: 1
; NumVGPRsForWavesPerEU: 1
; NamedBarCnt: 0
; Occupancy: 16
; WaveLimiterHint : 0
; COMPUTE_PGM_RSRC2:SCRATCH_EN: 0
; COMPUTE_PGM_RSRC2:USER_SGPR: 2
; COMPUTE_PGM_RSRC2:TRAP_HANDLER: 0
; COMPUTE_PGM_RSRC2:TGID_X_EN: 1
; COMPUTE_PGM_RSRC2:TGID_Y_EN: 0
; COMPUTE_PGM_RSRC2:TGID_Z_EN: 0
; COMPUTE_PGM_RSRC2:TIDIG_COMP_CNT: 0
	.section	.text._ZN7rocprim17ROCPRIM_400000_NS6detail17trampoline_kernelINS0_14default_configENS1_22reduce_config_selectorIfEEZNS1_11reduce_implILb1ES3_PfS7_fN6thrust23THRUST_200600_302600_NS4plusIfEEEE10hipError_tPvRmT1_T2_T3_mT4_P12ihipStream_tbEUlT_E1_NS1_11comp_targetILNS1_3genE9ELNS1_11target_archE1100ELNS1_3gpuE3ELNS1_3repE0EEENS1_30default_config_static_selectorELNS0_4arch9wavefront6targetE0EEEvSF_,"axG",@progbits,_ZN7rocprim17ROCPRIM_400000_NS6detail17trampoline_kernelINS0_14default_configENS1_22reduce_config_selectorIfEEZNS1_11reduce_implILb1ES3_PfS7_fN6thrust23THRUST_200600_302600_NS4plusIfEEEE10hipError_tPvRmT1_T2_T3_mT4_P12ihipStream_tbEUlT_E1_NS1_11comp_targetILNS1_3genE9ELNS1_11target_archE1100ELNS1_3gpuE3ELNS1_3repE0EEENS1_30default_config_static_selectorELNS0_4arch9wavefront6targetE0EEEvSF_,comdat
	.protected	_ZN7rocprim17ROCPRIM_400000_NS6detail17trampoline_kernelINS0_14default_configENS1_22reduce_config_selectorIfEEZNS1_11reduce_implILb1ES3_PfS7_fN6thrust23THRUST_200600_302600_NS4plusIfEEEE10hipError_tPvRmT1_T2_T3_mT4_P12ihipStream_tbEUlT_E1_NS1_11comp_targetILNS1_3genE9ELNS1_11target_archE1100ELNS1_3gpuE3ELNS1_3repE0EEENS1_30default_config_static_selectorELNS0_4arch9wavefront6targetE0EEEvSF_ ; -- Begin function _ZN7rocprim17ROCPRIM_400000_NS6detail17trampoline_kernelINS0_14default_configENS1_22reduce_config_selectorIfEEZNS1_11reduce_implILb1ES3_PfS7_fN6thrust23THRUST_200600_302600_NS4plusIfEEEE10hipError_tPvRmT1_T2_T3_mT4_P12ihipStream_tbEUlT_E1_NS1_11comp_targetILNS1_3genE9ELNS1_11target_archE1100ELNS1_3gpuE3ELNS1_3repE0EEENS1_30default_config_static_selectorELNS0_4arch9wavefront6targetE0EEEvSF_
	.globl	_ZN7rocprim17ROCPRIM_400000_NS6detail17trampoline_kernelINS0_14default_configENS1_22reduce_config_selectorIfEEZNS1_11reduce_implILb1ES3_PfS7_fN6thrust23THRUST_200600_302600_NS4plusIfEEEE10hipError_tPvRmT1_T2_T3_mT4_P12ihipStream_tbEUlT_E1_NS1_11comp_targetILNS1_3genE9ELNS1_11target_archE1100ELNS1_3gpuE3ELNS1_3repE0EEENS1_30default_config_static_selectorELNS0_4arch9wavefront6targetE0EEEvSF_
	.p2align	8
	.type	_ZN7rocprim17ROCPRIM_400000_NS6detail17trampoline_kernelINS0_14default_configENS1_22reduce_config_selectorIfEEZNS1_11reduce_implILb1ES3_PfS7_fN6thrust23THRUST_200600_302600_NS4plusIfEEEE10hipError_tPvRmT1_T2_T3_mT4_P12ihipStream_tbEUlT_E1_NS1_11comp_targetILNS1_3genE9ELNS1_11target_archE1100ELNS1_3gpuE3ELNS1_3repE0EEENS1_30default_config_static_selectorELNS0_4arch9wavefront6targetE0EEEvSF_,@function
_ZN7rocprim17ROCPRIM_400000_NS6detail17trampoline_kernelINS0_14default_configENS1_22reduce_config_selectorIfEEZNS1_11reduce_implILb1ES3_PfS7_fN6thrust23THRUST_200600_302600_NS4plusIfEEEE10hipError_tPvRmT1_T2_T3_mT4_P12ihipStream_tbEUlT_E1_NS1_11comp_targetILNS1_3genE9ELNS1_11target_archE1100ELNS1_3gpuE3ELNS1_3repE0EEENS1_30default_config_static_selectorELNS0_4arch9wavefront6targetE0EEEvSF_: ; @_ZN7rocprim17ROCPRIM_400000_NS6detail17trampoline_kernelINS0_14default_configENS1_22reduce_config_selectorIfEEZNS1_11reduce_implILb1ES3_PfS7_fN6thrust23THRUST_200600_302600_NS4plusIfEEEE10hipError_tPvRmT1_T2_T3_mT4_P12ihipStream_tbEUlT_E1_NS1_11comp_targetILNS1_3genE9ELNS1_11target_archE1100ELNS1_3gpuE3ELNS1_3repE0EEENS1_30default_config_static_selectorELNS0_4arch9wavefront6targetE0EEEvSF_
; %bb.0:
	.section	.rodata,"a",@progbits
	.p2align	6, 0x0
	.amdhsa_kernel _ZN7rocprim17ROCPRIM_400000_NS6detail17trampoline_kernelINS0_14default_configENS1_22reduce_config_selectorIfEEZNS1_11reduce_implILb1ES3_PfS7_fN6thrust23THRUST_200600_302600_NS4plusIfEEEE10hipError_tPvRmT1_T2_T3_mT4_P12ihipStream_tbEUlT_E1_NS1_11comp_targetILNS1_3genE9ELNS1_11target_archE1100ELNS1_3gpuE3ELNS1_3repE0EEENS1_30default_config_static_selectorELNS0_4arch9wavefront6targetE0EEEvSF_
		.amdhsa_group_segment_fixed_size 0
		.amdhsa_private_segment_fixed_size 0
		.amdhsa_kernarg_size 40
		.amdhsa_user_sgpr_count 2
		.amdhsa_user_sgpr_dispatch_ptr 0
		.amdhsa_user_sgpr_queue_ptr 0
		.amdhsa_user_sgpr_kernarg_segment_ptr 1
		.amdhsa_user_sgpr_dispatch_id 0
		.amdhsa_user_sgpr_kernarg_preload_length 0
		.amdhsa_user_sgpr_kernarg_preload_offset 0
		.amdhsa_user_sgpr_private_segment_size 0
		.amdhsa_wavefront_size32 1
		.amdhsa_uses_dynamic_stack 0
		.amdhsa_enable_private_segment 0
		.amdhsa_system_sgpr_workgroup_id_x 1
		.amdhsa_system_sgpr_workgroup_id_y 0
		.amdhsa_system_sgpr_workgroup_id_z 0
		.amdhsa_system_sgpr_workgroup_info 0
		.amdhsa_system_vgpr_workitem_id 0
		.amdhsa_next_free_vgpr 1
		.amdhsa_next_free_sgpr 1
		.amdhsa_named_barrier_count 0
		.amdhsa_reserve_vcc 0
		.amdhsa_float_round_mode_32 0
		.amdhsa_float_round_mode_16_64 0
		.amdhsa_float_denorm_mode_32 3
		.amdhsa_float_denorm_mode_16_64 3
		.amdhsa_fp16_overflow 0
		.amdhsa_memory_ordered 1
		.amdhsa_forward_progress 1
		.amdhsa_inst_pref_size 0
		.amdhsa_round_robin_scheduling 0
		.amdhsa_exception_fp_ieee_invalid_op 0
		.amdhsa_exception_fp_denorm_src 0
		.amdhsa_exception_fp_ieee_div_zero 0
		.amdhsa_exception_fp_ieee_overflow 0
		.amdhsa_exception_fp_ieee_underflow 0
		.amdhsa_exception_fp_ieee_inexact 0
		.amdhsa_exception_int_div_zero 0
	.end_amdhsa_kernel
	.section	.text._ZN7rocprim17ROCPRIM_400000_NS6detail17trampoline_kernelINS0_14default_configENS1_22reduce_config_selectorIfEEZNS1_11reduce_implILb1ES3_PfS7_fN6thrust23THRUST_200600_302600_NS4plusIfEEEE10hipError_tPvRmT1_T2_T3_mT4_P12ihipStream_tbEUlT_E1_NS1_11comp_targetILNS1_3genE9ELNS1_11target_archE1100ELNS1_3gpuE3ELNS1_3repE0EEENS1_30default_config_static_selectorELNS0_4arch9wavefront6targetE0EEEvSF_,"axG",@progbits,_ZN7rocprim17ROCPRIM_400000_NS6detail17trampoline_kernelINS0_14default_configENS1_22reduce_config_selectorIfEEZNS1_11reduce_implILb1ES3_PfS7_fN6thrust23THRUST_200600_302600_NS4plusIfEEEE10hipError_tPvRmT1_T2_T3_mT4_P12ihipStream_tbEUlT_E1_NS1_11comp_targetILNS1_3genE9ELNS1_11target_archE1100ELNS1_3gpuE3ELNS1_3repE0EEENS1_30default_config_static_selectorELNS0_4arch9wavefront6targetE0EEEvSF_,comdat
.Lfunc_end16:
	.size	_ZN7rocprim17ROCPRIM_400000_NS6detail17trampoline_kernelINS0_14default_configENS1_22reduce_config_selectorIfEEZNS1_11reduce_implILb1ES3_PfS7_fN6thrust23THRUST_200600_302600_NS4plusIfEEEE10hipError_tPvRmT1_T2_T3_mT4_P12ihipStream_tbEUlT_E1_NS1_11comp_targetILNS1_3genE9ELNS1_11target_archE1100ELNS1_3gpuE3ELNS1_3repE0EEENS1_30default_config_static_selectorELNS0_4arch9wavefront6targetE0EEEvSF_, .Lfunc_end16-_ZN7rocprim17ROCPRIM_400000_NS6detail17trampoline_kernelINS0_14default_configENS1_22reduce_config_selectorIfEEZNS1_11reduce_implILb1ES3_PfS7_fN6thrust23THRUST_200600_302600_NS4plusIfEEEE10hipError_tPvRmT1_T2_T3_mT4_P12ihipStream_tbEUlT_E1_NS1_11comp_targetILNS1_3genE9ELNS1_11target_archE1100ELNS1_3gpuE3ELNS1_3repE0EEENS1_30default_config_static_selectorELNS0_4arch9wavefront6targetE0EEEvSF_
                                        ; -- End function
	.set _ZN7rocprim17ROCPRIM_400000_NS6detail17trampoline_kernelINS0_14default_configENS1_22reduce_config_selectorIfEEZNS1_11reduce_implILb1ES3_PfS7_fN6thrust23THRUST_200600_302600_NS4plusIfEEEE10hipError_tPvRmT1_T2_T3_mT4_P12ihipStream_tbEUlT_E1_NS1_11comp_targetILNS1_3genE9ELNS1_11target_archE1100ELNS1_3gpuE3ELNS1_3repE0EEENS1_30default_config_static_selectorELNS0_4arch9wavefront6targetE0EEEvSF_.num_vgpr, 0
	.set _ZN7rocprim17ROCPRIM_400000_NS6detail17trampoline_kernelINS0_14default_configENS1_22reduce_config_selectorIfEEZNS1_11reduce_implILb1ES3_PfS7_fN6thrust23THRUST_200600_302600_NS4plusIfEEEE10hipError_tPvRmT1_T2_T3_mT4_P12ihipStream_tbEUlT_E1_NS1_11comp_targetILNS1_3genE9ELNS1_11target_archE1100ELNS1_3gpuE3ELNS1_3repE0EEENS1_30default_config_static_selectorELNS0_4arch9wavefront6targetE0EEEvSF_.num_agpr, 0
	.set _ZN7rocprim17ROCPRIM_400000_NS6detail17trampoline_kernelINS0_14default_configENS1_22reduce_config_selectorIfEEZNS1_11reduce_implILb1ES3_PfS7_fN6thrust23THRUST_200600_302600_NS4plusIfEEEE10hipError_tPvRmT1_T2_T3_mT4_P12ihipStream_tbEUlT_E1_NS1_11comp_targetILNS1_3genE9ELNS1_11target_archE1100ELNS1_3gpuE3ELNS1_3repE0EEENS1_30default_config_static_selectorELNS0_4arch9wavefront6targetE0EEEvSF_.numbered_sgpr, 0
	.set _ZN7rocprim17ROCPRIM_400000_NS6detail17trampoline_kernelINS0_14default_configENS1_22reduce_config_selectorIfEEZNS1_11reduce_implILb1ES3_PfS7_fN6thrust23THRUST_200600_302600_NS4plusIfEEEE10hipError_tPvRmT1_T2_T3_mT4_P12ihipStream_tbEUlT_E1_NS1_11comp_targetILNS1_3genE9ELNS1_11target_archE1100ELNS1_3gpuE3ELNS1_3repE0EEENS1_30default_config_static_selectorELNS0_4arch9wavefront6targetE0EEEvSF_.num_named_barrier, 0
	.set _ZN7rocprim17ROCPRIM_400000_NS6detail17trampoline_kernelINS0_14default_configENS1_22reduce_config_selectorIfEEZNS1_11reduce_implILb1ES3_PfS7_fN6thrust23THRUST_200600_302600_NS4plusIfEEEE10hipError_tPvRmT1_T2_T3_mT4_P12ihipStream_tbEUlT_E1_NS1_11comp_targetILNS1_3genE9ELNS1_11target_archE1100ELNS1_3gpuE3ELNS1_3repE0EEENS1_30default_config_static_selectorELNS0_4arch9wavefront6targetE0EEEvSF_.private_seg_size, 0
	.set _ZN7rocprim17ROCPRIM_400000_NS6detail17trampoline_kernelINS0_14default_configENS1_22reduce_config_selectorIfEEZNS1_11reduce_implILb1ES3_PfS7_fN6thrust23THRUST_200600_302600_NS4plusIfEEEE10hipError_tPvRmT1_T2_T3_mT4_P12ihipStream_tbEUlT_E1_NS1_11comp_targetILNS1_3genE9ELNS1_11target_archE1100ELNS1_3gpuE3ELNS1_3repE0EEENS1_30default_config_static_selectorELNS0_4arch9wavefront6targetE0EEEvSF_.uses_vcc, 0
	.set _ZN7rocprim17ROCPRIM_400000_NS6detail17trampoline_kernelINS0_14default_configENS1_22reduce_config_selectorIfEEZNS1_11reduce_implILb1ES3_PfS7_fN6thrust23THRUST_200600_302600_NS4plusIfEEEE10hipError_tPvRmT1_T2_T3_mT4_P12ihipStream_tbEUlT_E1_NS1_11comp_targetILNS1_3genE9ELNS1_11target_archE1100ELNS1_3gpuE3ELNS1_3repE0EEENS1_30default_config_static_selectorELNS0_4arch9wavefront6targetE0EEEvSF_.uses_flat_scratch, 0
	.set _ZN7rocprim17ROCPRIM_400000_NS6detail17trampoline_kernelINS0_14default_configENS1_22reduce_config_selectorIfEEZNS1_11reduce_implILb1ES3_PfS7_fN6thrust23THRUST_200600_302600_NS4plusIfEEEE10hipError_tPvRmT1_T2_T3_mT4_P12ihipStream_tbEUlT_E1_NS1_11comp_targetILNS1_3genE9ELNS1_11target_archE1100ELNS1_3gpuE3ELNS1_3repE0EEENS1_30default_config_static_selectorELNS0_4arch9wavefront6targetE0EEEvSF_.has_dyn_sized_stack, 0
	.set _ZN7rocprim17ROCPRIM_400000_NS6detail17trampoline_kernelINS0_14default_configENS1_22reduce_config_selectorIfEEZNS1_11reduce_implILb1ES3_PfS7_fN6thrust23THRUST_200600_302600_NS4plusIfEEEE10hipError_tPvRmT1_T2_T3_mT4_P12ihipStream_tbEUlT_E1_NS1_11comp_targetILNS1_3genE9ELNS1_11target_archE1100ELNS1_3gpuE3ELNS1_3repE0EEENS1_30default_config_static_selectorELNS0_4arch9wavefront6targetE0EEEvSF_.has_recursion, 0
	.set _ZN7rocprim17ROCPRIM_400000_NS6detail17trampoline_kernelINS0_14default_configENS1_22reduce_config_selectorIfEEZNS1_11reduce_implILb1ES3_PfS7_fN6thrust23THRUST_200600_302600_NS4plusIfEEEE10hipError_tPvRmT1_T2_T3_mT4_P12ihipStream_tbEUlT_E1_NS1_11comp_targetILNS1_3genE9ELNS1_11target_archE1100ELNS1_3gpuE3ELNS1_3repE0EEENS1_30default_config_static_selectorELNS0_4arch9wavefront6targetE0EEEvSF_.has_indirect_call, 0
	.section	.AMDGPU.csdata,"",@progbits
; Kernel info:
; codeLenInByte = 0
; TotalNumSgprs: 0
; NumVgprs: 0
; ScratchSize: 0
; MemoryBound: 0
; FloatMode: 240
; IeeeMode: 1
; LDSByteSize: 0 bytes/workgroup (compile time only)
; SGPRBlocks: 0
; VGPRBlocks: 0
; NumSGPRsForWavesPerEU: 1
; NumVGPRsForWavesPerEU: 1
; NamedBarCnt: 0
; Occupancy: 16
; WaveLimiterHint : 0
; COMPUTE_PGM_RSRC2:SCRATCH_EN: 0
; COMPUTE_PGM_RSRC2:USER_SGPR: 2
; COMPUTE_PGM_RSRC2:TRAP_HANDLER: 0
; COMPUTE_PGM_RSRC2:TGID_X_EN: 1
; COMPUTE_PGM_RSRC2:TGID_Y_EN: 0
; COMPUTE_PGM_RSRC2:TGID_Z_EN: 0
; COMPUTE_PGM_RSRC2:TIDIG_COMP_CNT: 0
	.section	.text._ZN7rocprim17ROCPRIM_400000_NS6detail17trampoline_kernelINS0_14default_configENS1_22reduce_config_selectorIfEEZNS1_11reduce_implILb1ES3_PfS7_fN6thrust23THRUST_200600_302600_NS4plusIfEEEE10hipError_tPvRmT1_T2_T3_mT4_P12ihipStream_tbEUlT_E1_NS1_11comp_targetILNS1_3genE8ELNS1_11target_archE1030ELNS1_3gpuE2ELNS1_3repE0EEENS1_30default_config_static_selectorELNS0_4arch9wavefront6targetE0EEEvSF_,"axG",@progbits,_ZN7rocprim17ROCPRIM_400000_NS6detail17trampoline_kernelINS0_14default_configENS1_22reduce_config_selectorIfEEZNS1_11reduce_implILb1ES3_PfS7_fN6thrust23THRUST_200600_302600_NS4plusIfEEEE10hipError_tPvRmT1_T2_T3_mT4_P12ihipStream_tbEUlT_E1_NS1_11comp_targetILNS1_3genE8ELNS1_11target_archE1030ELNS1_3gpuE2ELNS1_3repE0EEENS1_30default_config_static_selectorELNS0_4arch9wavefront6targetE0EEEvSF_,comdat
	.protected	_ZN7rocprim17ROCPRIM_400000_NS6detail17trampoline_kernelINS0_14default_configENS1_22reduce_config_selectorIfEEZNS1_11reduce_implILb1ES3_PfS7_fN6thrust23THRUST_200600_302600_NS4plusIfEEEE10hipError_tPvRmT1_T2_T3_mT4_P12ihipStream_tbEUlT_E1_NS1_11comp_targetILNS1_3genE8ELNS1_11target_archE1030ELNS1_3gpuE2ELNS1_3repE0EEENS1_30default_config_static_selectorELNS0_4arch9wavefront6targetE0EEEvSF_ ; -- Begin function _ZN7rocprim17ROCPRIM_400000_NS6detail17trampoline_kernelINS0_14default_configENS1_22reduce_config_selectorIfEEZNS1_11reduce_implILb1ES3_PfS7_fN6thrust23THRUST_200600_302600_NS4plusIfEEEE10hipError_tPvRmT1_T2_T3_mT4_P12ihipStream_tbEUlT_E1_NS1_11comp_targetILNS1_3genE8ELNS1_11target_archE1030ELNS1_3gpuE2ELNS1_3repE0EEENS1_30default_config_static_selectorELNS0_4arch9wavefront6targetE0EEEvSF_
	.globl	_ZN7rocprim17ROCPRIM_400000_NS6detail17trampoline_kernelINS0_14default_configENS1_22reduce_config_selectorIfEEZNS1_11reduce_implILb1ES3_PfS7_fN6thrust23THRUST_200600_302600_NS4plusIfEEEE10hipError_tPvRmT1_T2_T3_mT4_P12ihipStream_tbEUlT_E1_NS1_11comp_targetILNS1_3genE8ELNS1_11target_archE1030ELNS1_3gpuE2ELNS1_3repE0EEENS1_30default_config_static_selectorELNS0_4arch9wavefront6targetE0EEEvSF_
	.p2align	8
	.type	_ZN7rocprim17ROCPRIM_400000_NS6detail17trampoline_kernelINS0_14default_configENS1_22reduce_config_selectorIfEEZNS1_11reduce_implILb1ES3_PfS7_fN6thrust23THRUST_200600_302600_NS4plusIfEEEE10hipError_tPvRmT1_T2_T3_mT4_P12ihipStream_tbEUlT_E1_NS1_11comp_targetILNS1_3genE8ELNS1_11target_archE1030ELNS1_3gpuE2ELNS1_3repE0EEENS1_30default_config_static_selectorELNS0_4arch9wavefront6targetE0EEEvSF_,@function
_ZN7rocprim17ROCPRIM_400000_NS6detail17trampoline_kernelINS0_14default_configENS1_22reduce_config_selectorIfEEZNS1_11reduce_implILb1ES3_PfS7_fN6thrust23THRUST_200600_302600_NS4plusIfEEEE10hipError_tPvRmT1_T2_T3_mT4_P12ihipStream_tbEUlT_E1_NS1_11comp_targetILNS1_3genE8ELNS1_11target_archE1030ELNS1_3gpuE2ELNS1_3repE0EEENS1_30default_config_static_selectorELNS0_4arch9wavefront6targetE0EEEvSF_: ; @_ZN7rocprim17ROCPRIM_400000_NS6detail17trampoline_kernelINS0_14default_configENS1_22reduce_config_selectorIfEEZNS1_11reduce_implILb1ES3_PfS7_fN6thrust23THRUST_200600_302600_NS4plusIfEEEE10hipError_tPvRmT1_T2_T3_mT4_P12ihipStream_tbEUlT_E1_NS1_11comp_targetILNS1_3genE8ELNS1_11target_archE1030ELNS1_3gpuE2ELNS1_3repE0EEENS1_30default_config_static_selectorELNS0_4arch9wavefront6targetE0EEEvSF_
; %bb.0:
	.section	.rodata,"a",@progbits
	.p2align	6, 0x0
	.amdhsa_kernel _ZN7rocprim17ROCPRIM_400000_NS6detail17trampoline_kernelINS0_14default_configENS1_22reduce_config_selectorIfEEZNS1_11reduce_implILb1ES3_PfS7_fN6thrust23THRUST_200600_302600_NS4plusIfEEEE10hipError_tPvRmT1_T2_T3_mT4_P12ihipStream_tbEUlT_E1_NS1_11comp_targetILNS1_3genE8ELNS1_11target_archE1030ELNS1_3gpuE2ELNS1_3repE0EEENS1_30default_config_static_selectorELNS0_4arch9wavefront6targetE0EEEvSF_
		.amdhsa_group_segment_fixed_size 0
		.amdhsa_private_segment_fixed_size 0
		.amdhsa_kernarg_size 40
		.amdhsa_user_sgpr_count 2
		.amdhsa_user_sgpr_dispatch_ptr 0
		.amdhsa_user_sgpr_queue_ptr 0
		.amdhsa_user_sgpr_kernarg_segment_ptr 1
		.amdhsa_user_sgpr_dispatch_id 0
		.amdhsa_user_sgpr_kernarg_preload_length 0
		.amdhsa_user_sgpr_kernarg_preload_offset 0
		.amdhsa_user_sgpr_private_segment_size 0
		.amdhsa_wavefront_size32 1
		.amdhsa_uses_dynamic_stack 0
		.amdhsa_enable_private_segment 0
		.amdhsa_system_sgpr_workgroup_id_x 1
		.amdhsa_system_sgpr_workgroup_id_y 0
		.amdhsa_system_sgpr_workgroup_id_z 0
		.amdhsa_system_sgpr_workgroup_info 0
		.amdhsa_system_vgpr_workitem_id 0
		.amdhsa_next_free_vgpr 1
		.amdhsa_next_free_sgpr 1
		.amdhsa_named_barrier_count 0
		.amdhsa_reserve_vcc 0
		.amdhsa_float_round_mode_32 0
		.amdhsa_float_round_mode_16_64 0
		.amdhsa_float_denorm_mode_32 3
		.amdhsa_float_denorm_mode_16_64 3
		.amdhsa_fp16_overflow 0
		.amdhsa_memory_ordered 1
		.amdhsa_forward_progress 1
		.amdhsa_inst_pref_size 0
		.amdhsa_round_robin_scheduling 0
		.amdhsa_exception_fp_ieee_invalid_op 0
		.amdhsa_exception_fp_denorm_src 0
		.amdhsa_exception_fp_ieee_div_zero 0
		.amdhsa_exception_fp_ieee_overflow 0
		.amdhsa_exception_fp_ieee_underflow 0
		.amdhsa_exception_fp_ieee_inexact 0
		.amdhsa_exception_int_div_zero 0
	.end_amdhsa_kernel
	.section	.text._ZN7rocprim17ROCPRIM_400000_NS6detail17trampoline_kernelINS0_14default_configENS1_22reduce_config_selectorIfEEZNS1_11reduce_implILb1ES3_PfS7_fN6thrust23THRUST_200600_302600_NS4plusIfEEEE10hipError_tPvRmT1_T2_T3_mT4_P12ihipStream_tbEUlT_E1_NS1_11comp_targetILNS1_3genE8ELNS1_11target_archE1030ELNS1_3gpuE2ELNS1_3repE0EEENS1_30default_config_static_selectorELNS0_4arch9wavefront6targetE0EEEvSF_,"axG",@progbits,_ZN7rocprim17ROCPRIM_400000_NS6detail17trampoline_kernelINS0_14default_configENS1_22reduce_config_selectorIfEEZNS1_11reduce_implILb1ES3_PfS7_fN6thrust23THRUST_200600_302600_NS4plusIfEEEE10hipError_tPvRmT1_T2_T3_mT4_P12ihipStream_tbEUlT_E1_NS1_11comp_targetILNS1_3genE8ELNS1_11target_archE1030ELNS1_3gpuE2ELNS1_3repE0EEENS1_30default_config_static_selectorELNS0_4arch9wavefront6targetE0EEEvSF_,comdat
.Lfunc_end17:
	.size	_ZN7rocprim17ROCPRIM_400000_NS6detail17trampoline_kernelINS0_14default_configENS1_22reduce_config_selectorIfEEZNS1_11reduce_implILb1ES3_PfS7_fN6thrust23THRUST_200600_302600_NS4plusIfEEEE10hipError_tPvRmT1_T2_T3_mT4_P12ihipStream_tbEUlT_E1_NS1_11comp_targetILNS1_3genE8ELNS1_11target_archE1030ELNS1_3gpuE2ELNS1_3repE0EEENS1_30default_config_static_selectorELNS0_4arch9wavefront6targetE0EEEvSF_, .Lfunc_end17-_ZN7rocprim17ROCPRIM_400000_NS6detail17trampoline_kernelINS0_14default_configENS1_22reduce_config_selectorIfEEZNS1_11reduce_implILb1ES3_PfS7_fN6thrust23THRUST_200600_302600_NS4plusIfEEEE10hipError_tPvRmT1_T2_T3_mT4_P12ihipStream_tbEUlT_E1_NS1_11comp_targetILNS1_3genE8ELNS1_11target_archE1030ELNS1_3gpuE2ELNS1_3repE0EEENS1_30default_config_static_selectorELNS0_4arch9wavefront6targetE0EEEvSF_
                                        ; -- End function
	.set _ZN7rocprim17ROCPRIM_400000_NS6detail17trampoline_kernelINS0_14default_configENS1_22reduce_config_selectorIfEEZNS1_11reduce_implILb1ES3_PfS7_fN6thrust23THRUST_200600_302600_NS4plusIfEEEE10hipError_tPvRmT1_T2_T3_mT4_P12ihipStream_tbEUlT_E1_NS1_11comp_targetILNS1_3genE8ELNS1_11target_archE1030ELNS1_3gpuE2ELNS1_3repE0EEENS1_30default_config_static_selectorELNS0_4arch9wavefront6targetE0EEEvSF_.num_vgpr, 0
	.set _ZN7rocprim17ROCPRIM_400000_NS6detail17trampoline_kernelINS0_14default_configENS1_22reduce_config_selectorIfEEZNS1_11reduce_implILb1ES3_PfS7_fN6thrust23THRUST_200600_302600_NS4plusIfEEEE10hipError_tPvRmT1_T2_T3_mT4_P12ihipStream_tbEUlT_E1_NS1_11comp_targetILNS1_3genE8ELNS1_11target_archE1030ELNS1_3gpuE2ELNS1_3repE0EEENS1_30default_config_static_selectorELNS0_4arch9wavefront6targetE0EEEvSF_.num_agpr, 0
	.set _ZN7rocprim17ROCPRIM_400000_NS6detail17trampoline_kernelINS0_14default_configENS1_22reduce_config_selectorIfEEZNS1_11reduce_implILb1ES3_PfS7_fN6thrust23THRUST_200600_302600_NS4plusIfEEEE10hipError_tPvRmT1_T2_T3_mT4_P12ihipStream_tbEUlT_E1_NS1_11comp_targetILNS1_3genE8ELNS1_11target_archE1030ELNS1_3gpuE2ELNS1_3repE0EEENS1_30default_config_static_selectorELNS0_4arch9wavefront6targetE0EEEvSF_.numbered_sgpr, 0
	.set _ZN7rocprim17ROCPRIM_400000_NS6detail17trampoline_kernelINS0_14default_configENS1_22reduce_config_selectorIfEEZNS1_11reduce_implILb1ES3_PfS7_fN6thrust23THRUST_200600_302600_NS4plusIfEEEE10hipError_tPvRmT1_T2_T3_mT4_P12ihipStream_tbEUlT_E1_NS1_11comp_targetILNS1_3genE8ELNS1_11target_archE1030ELNS1_3gpuE2ELNS1_3repE0EEENS1_30default_config_static_selectorELNS0_4arch9wavefront6targetE0EEEvSF_.num_named_barrier, 0
	.set _ZN7rocprim17ROCPRIM_400000_NS6detail17trampoline_kernelINS0_14default_configENS1_22reduce_config_selectorIfEEZNS1_11reduce_implILb1ES3_PfS7_fN6thrust23THRUST_200600_302600_NS4plusIfEEEE10hipError_tPvRmT1_T2_T3_mT4_P12ihipStream_tbEUlT_E1_NS1_11comp_targetILNS1_3genE8ELNS1_11target_archE1030ELNS1_3gpuE2ELNS1_3repE0EEENS1_30default_config_static_selectorELNS0_4arch9wavefront6targetE0EEEvSF_.private_seg_size, 0
	.set _ZN7rocprim17ROCPRIM_400000_NS6detail17trampoline_kernelINS0_14default_configENS1_22reduce_config_selectorIfEEZNS1_11reduce_implILb1ES3_PfS7_fN6thrust23THRUST_200600_302600_NS4plusIfEEEE10hipError_tPvRmT1_T2_T3_mT4_P12ihipStream_tbEUlT_E1_NS1_11comp_targetILNS1_3genE8ELNS1_11target_archE1030ELNS1_3gpuE2ELNS1_3repE0EEENS1_30default_config_static_selectorELNS0_4arch9wavefront6targetE0EEEvSF_.uses_vcc, 0
	.set _ZN7rocprim17ROCPRIM_400000_NS6detail17trampoline_kernelINS0_14default_configENS1_22reduce_config_selectorIfEEZNS1_11reduce_implILb1ES3_PfS7_fN6thrust23THRUST_200600_302600_NS4plusIfEEEE10hipError_tPvRmT1_T2_T3_mT4_P12ihipStream_tbEUlT_E1_NS1_11comp_targetILNS1_3genE8ELNS1_11target_archE1030ELNS1_3gpuE2ELNS1_3repE0EEENS1_30default_config_static_selectorELNS0_4arch9wavefront6targetE0EEEvSF_.uses_flat_scratch, 0
	.set _ZN7rocprim17ROCPRIM_400000_NS6detail17trampoline_kernelINS0_14default_configENS1_22reduce_config_selectorIfEEZNS1_11reduce_implILb1ES3_PfS7_fN6thrust23THRUST_200600_302600_NS4plusIfEEEE10hipError_tPvRmT1_T2_T3_mT4_P12ihipStream_tbEUlT_E1_NS1_11comp_targetILNS1_3genE8ELNS1_11target_archE1030ELNS1_3gpuE2ELNS1_3repE0EEENS1_30default_config_static_selectorELNS0_4arch9wavefront6targetE0EEEvSF_.has_dyn_sized_stack, 0
	.set _ZN7rocprim17ROCPRIM_400000_NS6detail17trampoline_kernelINS0_14default_configENS1_22reduce_config_selectorIfEEZNS1_11reduce_implILb1ES3_PfS7_fN6thrust23THRUST_200600_302600_NS4plusIfEEEE10hipError_tPvRmT1_T2_T3_mT4_P12ihipStream_tbEUlT_E1_NS1_11comp_targetILNS1_3genE8ELNS1_11target_archE1030ELNS1_3gpuE2ELNS1_3repE0EEENS1_30default_config_static_selectorELNS0_4arch9wavefront6targetE0EEEvSF_.has_recursion, 0
	.set _ZN7rocprim17ROCPRIM_400000_NS6detail17trampoline_kernelINS0_14default_configENS1_22reduce_config_selectorIfEEZNS1_11reduce_implILb1ES3_PfS7_fN6thrust23THRUST_200600_302600_NS4plusIfEEEE10hipError_tPvRmT1_T2_T3_mT4_P12ihipStream_tbEUlT_E1_NS1_11comp_targetILNS1_3genE8ELNS1_11target_archE1030ELNS1_3gpuE2ELNS1_3repE0EEENS1_30default_config_static_selectorELNS0_4arch9wavefront6targetE0EEEvSF_.has_indirect_call, 0
	.section	.AMDGPU.csdata,"",@progbits
; Kernel info:
; codeLenInByte = 0
; TotalNumSgprs: 0
; NumVgprs: 0
; ScratchSize: 0
; MemoryBound: 0
; FloatMode: 240
; IeeeMode: 1
; LDSByteSize: 0 bytes/workgroup (compile time only)
; SGPRBlocks: 0
; VGPRBlocks: 0
; NumSGPRsForWavesPerEU: 1
; NumVGPRsForWavesPerEU: 1
; NamedBarCnt: 0
; Occupancy: 16
; WaveLimiterHint : 0
; COMPUTE_PGM_RSRC2:SCRATCH_EN: 0
; COMPUTE_PGM_RSRC2:USER_SGPR: 2
; COMPUTE_PGM_RSRC2:TRAP_HANDLER: 0
; COMPUTE_PGM_RSRC2:TGID_X_EN: 1
; COMPUTE_PGM_RSRC2:TGID_Y_EN: 0
; COMPUTE_PGM_RSRC2:TGID_Z_EN: 0
; COMPUTE_PGM_RSRC2:TIDIG_COMP_CNT: 0
	.section	.text._ZN7rocprim17ROCPRIM_400000_NS6detail17trampoline_kernelINS0_14default_configENS1_22reduce_config_selectorIfEEZNS1_11reduce_implILb1ES3_N6thrust23THRUST_200600_302600_NS11hip_rocprim26transform_input_iterator_tIfNS8_17counting_iteratorIiNS8_11use_defaultESC_SC_EE11estimate_piEEPffNS8_4plusIfEEEE10hipError_tPvRmT1_T2_T3_mT4_P12ihipStream_tbEUlT_E0_NS1_11comp_targetILNS1_3genE0ELNS1_11target_archE4294967295ELNS1_3gpuE0ELNS1_3repE0EEENS1_30default_config_static_selectorELNS0_4arch9wavefront6targetE0EEEvSM_,"axG",@progbits,_ZN7rocprim17ROCPRIM_400000_NS6detail17trampoline_kernelINS0_14default_configENS1_22reduce_config_selectorIfEEZNS1_11reduce_implILb1ES3_N6thrust23THRUST_200600_302600_NS11hip_rocprim26transform_input_iterator_tIfNS8_17counting_iteratorIiNS8_11use_defaultESC_SC_EE11estimate_piEEPffNS8_4plusIfEEEE10hipError_tPvRmT1_T2_T3_mT4_P12ihipStream_tbEUlT_E0_NS1_11comp_targetILNS1_3genE0ELNS1_11target_archE4294967295ELNS1_3gpuE0ELNS1_3repE0EEENS1_30default_config_static_selectorELNS0_4arch9wavefront6targetE0EEEvSM_,comdat
	.protected	_ZN7rocprim17ROCPRIM_400000_NS6detail17trampoline_kernelINS0_14default_configENS1_22reduce_config_selectorIfEEZNS1_11reduce_implILb1ES3_N6thrust23THRUST_200600_302600_NS11hip_rocprim26transform_input_iterator_tIfNS8_17counting_iteratorIiNS8_11use_defaultESC_SC_EE11estimate_piEEPffNS8_4plusIfEEEE10hipError_tPvRmT1_T2_T3_mT4_P12ihipStream_tbEUlT_E0_NS1_11comp_targetILNS1_3genE0ELNS1_11target_archE4294967295ELNS1_3gpuE0ELNS1_3repE0EEENS1_30default_config_static_selectorELNS0_4arch9wavefront6targetE0EEEvSM_ ; -- Begin function _ZN7rocprim17ROCPRIM_400000_NS6detail17trampoline_kernelINS0_14default_configENS1_22reduce_config_selectorIfEEZNS1_11reduce_implILb1ES3_N6thrust23THRUST_200600_302600_NS11hip_rocprim26transform_input_iterator_tIfNS8_17counting_iteratorIiNS8_11use_defaultESC_SC_EE11estimate_piEEPffNS8_4plusIfEEEE10hipError_tPvRmT1_T2_T3_mT4_P12ihipStream_tbEUlT_E0_NS1_11comp_targetILNS1_3genE0ELNS1_11target_archE4294967295ELNS1_3gpuE0ELNS1_3repE0EEENS1_30default_config_static_selectorELNS0_4arch9wavefront6targetE0EEEvSM_
	.globl	_ZN7rocprim17ROCPRIM_400000_NS6detail17trampoline_kernelINS0_14default_configENS1_22reduce_config_selectorIfEEZNS1_11reduce_implILb1ES3_N6thrust23THRUST_200600_302600_NS11hip_rocprim26transform_input_iterator_tIfNS8_17counting_iteratorIiNS8_11use_defaultESC_SC_EE11estimate_piEEPffNS8_4plusIfEEEE10hipError_tPvRmT1_T2_T3_mT4_P12ihipStream_tbEUlT_E0_NS1_11comp_targetILNS1_3genE0ELNS1_11target_archE4294967295ELNS1_3gpuE0ELNS1_3repE0EEENS1_30default_config_static_selectorELNS0_4arch9wavefront6targetE0EEEvSM_
	.p2align	8
	.type	_ZN7rocprim17ROCPRIM_400000_NS6detail17trampoline_kernelINS0_14default_configENS1_22reduce_config_selectorIfEEZNS1_11reduce_implILb1ES3_N6thrust23THRUST_200600_302600_NS11hip_rocprim26transform_input_iterator_tIfNS8_17counting_iteratorIiNS8_11use_defaultESC_SC_EE11estimate_piEEPffNS8_4plusIfEEEE10hipError_tPvRmT1_T2_T3_mT4_P12ihipStream_tbEUlT_E0_NS1_11comp_targetILNS1_3genE0ELNS1_11target_archE4294967295ELNS1_3gpuE0ELNS1_3repE0EEENS1_30default_config_static_selectorELNS0_4arch9wavefront6targetE0EEEvSM_,@function
_ZN7rocprim17ROCPRIM_400000_NS6detail17trampoline_kernelINS0_14default_configENS1_22reduce_config_selectorIfEEZNS1_11reduce_implILb1ES3_N6thrust23THRUST_200600_302600_NS11hip_rocprim26transform_input_iterator_tIfNS8_17counting_iteratorIiNS8_11use_defaultESC_SC_EE11estimate_piEEPffNS8_4plusIfEEEE10hipError_tPvRmT1_T2_T3_mT4_P12ihipStream_tbEUlT_E0_NS1_11comp_targetILNS1_3genE0ELNS1_11target_archE4294967295ELNS1_3gpuE0ELNS1_3repE0EEENS1_30default_config_static_selectorELNS0_4arch9wavefront6targetE0EEEvSM_: ; @_ZN7rocprim17ROCPRIM_400000_NS6detail17trampoline_kernelINS0_14default_configENS1_22reduce_config_selectorIfEEZNS1_11reduce_implILb1ES3_N6thrust23THRUST_200600_302600_NS11hip_rocprim26transform_input_iterator_tIfNS8_17counting_iteratorIiNS8_11use_defaultESC_SC_EE11estimate_piEEPffNS8_4plusIfEEEE10hipError_tPvRmT1_T2_T3_mT4_P12ihipStream_tbEUlT_E0_NS1_11comp_targetILNS1_3genE0ELNS1_11target_archE4294967295ELNS1_3gpuE0ELNS1_3repE0EEENS1_30default_config_static_selectorELNS0_4arch9wavefront6targetE0EEEvSM_
; %bb.0:
	s_clause 0x2
	s_load_b32 s2, s[0:1], 0x0
	s_load_b256 s[8:15], s[0:1], 0x8
	s_load_b64 s[16:17], s[0:1], 0x28
	s_bfe_u32 s3, ttmp6, 0x4000c
	s_and_b32 s4, ttmp6, 15
	s_add_co_i32 s3, s3, 1
	s_getreg_b32 s5, hwreg(HW_REG_IB_STS2, 6, 4)
	s_mul_i32 s3, ttmp9, s3
	s_mov_b32 s19, 0
	s_add_co_i32 s4, s4, s3
	s_cmp_eq_u32 s5, 0
	s_cselect_b32 s18, ttmp9, s4
	s_delay_alu instid0(SALU_CYCLE_1)
	s_lshl_b32 s22, s18, 10
	s_wait_kmcnt 0x0
	s_add_co_i32 s24, s2, s22
	s_lshr_b64 s[2:3], s[10:11], 10
	s_add_co_i32 s24, s24, s8
	s_cmp_lg_u64 s[2:3], s[18:19]
	s_cbranch_scc0 .LBB18_6
; %bb.1:
	v_dual_add_nc_u32 v1, s24, v0 :: v_dual_mov_b32 v3, 1
	s_mov_b32 s23, exec_lo
	s_delay_alu instid0(VALU_DEP_1) | instskip(NEXT) | instid1(VALU_DEP_1)
	v_mul_lo_u32 v2, 0x1388, v1
	v_cmpx_ne_u32_e32 0, v2
	s_cbranch_execz .LBB18_8
; %bb.2:
	v_mov_b32_e32 v5, 0
	v_mov_b64_e32 v[8:9], 1
	s_mov_b64 s[20:21], 0xbc8f
	s_mov_b64 s[2:3], 0xfffffffd
	;; [unrolled: 1-line block ×3, first 2 shown]
	v_mov_b32_e32 v3, v5
	s_mov_b64 s[6:7], 0x80000001
	s_mov_b32 s9, 0
	s_mov_b32 s25, 0
	s_delay_alu instid0(VALU_DEP_1)
	v_mov_b64_e32 v[6:7], v[2:3]
	s_branch .LBB18_4
.LBB18_3:                               ;   in Loop: Header=BB18_4 Depth=1
	s_or_b32 exec_lo, exec_lo, s8
	s_mul_u64 s[20:21], s[20:21], s[20:21]
	s_mov_b32 s27, s9
	s_and_b64 s[28:29], s[20:21], s[2:3]
	s_mov_b32 s8, s21
	s_mul_u64 s[30:31], s[28:29], 3
	s_mul_u64 s[34:35], s[8:9], 3
	s_mov_b32 s26, s31
	s_mul_u64 s[28:29], s[28:29], s[6:7]
	s_add_nc_u64 s[26:27], s[34:35], s[26:27]
	v_lshrrev_b64 v[10:11], 1, v[6:7]
	s_and_b64 s[34:35], s[26:27], s[4:5]
	s_mov_b32 s31, s9
	s_add_nc_u64 s[28:29], s[28:29], s[34:35]
	s_mov_b32 s37, s9
	s_mov_b32 s30, s27
	;; [unrolled: 1-line block ×3, first 2 shown]
	s_mul_u64 s[28:29], s[8:9], s[6:7]
	s_add_nc_u64 s[26:27], s[30:31], s[36:37]
	v_cmp_gt_u64_e32 vcc_lo, 2, v[6:7]
	s_add_nc_u64 s[26:27], s[28:29], s[26:27]
	v_mov_b64_e32 v[6:7], v[10:11]
	s_lshr_b64 s[26:27], s[26:27], 30
	s_delay_alu instid0(SALU_CYCLE_1)
	s_mul_u64 s[26:27], s[26:27], 0x7fffffff
	s_or_b32 s25, vcc_lo, s25
	s_sub_nc_u64 s[20:21], s[20:21], s[26:27]
	s_and_not1_b32 exec_lo, exec_lo, s25
	s_cbranch_execz .LBB18_7
.LBB18_4:                               ; =>This Inner Loop Header: Depth=1
	s_delay_alu instid0(VALU_DEP_1) | instskip(SKIP_1) | instid1(VALU_DEP_1)
	v_and_b32_e32 v1, 1, v6
	s_mov_b32 s8, exec_lo
	v_cmpx_eq_u32_e32 1, v1
	s_cbranch_execz .LBB18_3
; %bb.5:                                ;   in Loop: Header=BB18_4 Depth=1
	v_mul_u64_e32 v[8:9], s[20:21], v[8:9]
	s_delay_alu instid0(VALU_DEP_1) | instskip(NEXT) | instid1(VALU_DEP_1)
	v_mov_b32_e32 v4, v8
	v_mul_u64_e32 v[10:11], 5, v[4:5]
	s_delay_alu instid0(VALU_DEP_1) | instskip(NEXT) | instid1(VALU_DEP_1)
	v_mov_b32_e32 v4, v11
	v_mad_nc_u64_u32 v[10:11], v9, 5, v[4:5]
	s_delay_alu instid0(VALU_DEP_1) | instskip(NEXT) | instid1(VALU_DEP_1)
	v_dual_mov_b32 v4, v11 :: v_dual_mov_b32 v11, v5
	v_mad_nc_u64_u32 v[10:11], v8, 2, v[10:11]
	s_delay_alu instid0(VALU_DEP_1) | instskip(NEXT) | instid1(VALU_DEP_1)
	v_dual_mov_b32 v10, v11 :: v_dual_mov_b32 v11, v5
	v_add_nc_u64_e32 v[10:11], v[4:5], v[10:11]
	s_delay_alu instid0(VALU_DEP_1) | instskip(NEXT) | instid1(VALU_DEP_1)
	v_mad_nc_u64_u32 v[10:11], v9, 2, v[10:11]
	v_sub_nc_u64_e32 v[12:13], v[8:9], v[10:11]
	s_delay_alu instid0(VALU_DEP_1) | instskip(NEXT) | instid1(VALU_DEP_1)
	v_lshrrev_b64 v[12:13], 1, v[12:13]
	v_add_nc_u64_e32 v[10:11], v[12:13], v[10:11]
	s_delay_alu instid0(VALU_DEP_1) | instskip(NEXT) | instid1(VALU_DEP_1)
	v_lshrrev_b64 v[10:11], 30, v[10:11]
	v_mul_u64_e32 v[10:11], 0x7fffffff, v[10:11]
	s_delay_alu instid0(VALU_DEP_1)
	v_sub_nc_u64_e32 v[8:9], v[8:9], v[10:11]
	s_branch .LBB18_3
.LBB18_6:
                                        ; implicit-def: $vgpr2
	s_cbranch_execnz .LBB18_39
	s_branch .LBB18_84
.LBB18_7:
	s_or_b32 exec_lo, exec_lo, s25
	v_add_min_u32_e64 v1, 0x80000001, v8, v8
	s_delay_alu instid0(VALU_DEP_1)
	v_add_min_u32_e64 v3, 0x80000001, v1, v1
.LBB18_8:
	s_or_b32 exec_lo, exec_lo, s23
	v_mov_b32_e32 v1, 0
	s_movk_i32 s5, 0x1388
	s_brev_b32 s4, 12
.LBB18_9:                               ; =>This Inner Loop Header: Depth=1
	v_mul_hi_u32 v4, 0xbc8f1391, v3
	s_delay_alu instid0(VALU_DEP_1) | instskip(NEXT) | instid1(VALU_DEP_1)
	v_lshrrev_b32_e32 v4, 15, v4
	v_mul_u32_u24_e32 v5, 0xadc8, v4
	s_delay_alu instid0(VALU_DEP_1) | instskip(SKIP_1) | instid1(VALU_DEP_2)
	v_sub_nc_u32_e32 v3, v3, v5
	v_mul_u32_u24_e32 v4, 0xd47, v4
	v_mul_lo_u32 v3, 0xbc8f, v3
	s_delay_alu instid0(VALU_DEP_2) | instskip(SKIP_1) | instid1(VALU_DEP_3)
	v_xor_b32_e32 v5, 0x7fffffff, v4
	v_sub_nc_u32_e32 v6, 0, v4
	v_cmp_lt_u32_e32 vcc_lo, v3, v4
	s_delay_alu instid0(VALU_DEP_2) | instskip(NEXT) | instid1(VALU_DEP_1)
	v_cndmask_b32_e32 v4, v6, v5, vcc_lo
	v_add_nc_u32_e32 v3, v4, v3
	s_delay_alu instid0(VALU_DEP_1) | instskip(NEXT) | instid1(VALU_DEP_1)
	v_mul_hi_u32 v4, 0xbc8f1391, v3
	v_lshrrev_b32_e32 v4, 15, v4
	s_delay_alu instid0(VALU_DEP_1) | instskip(SKIP_1) | instid1(VALU_DEP_2)
	v_mul_u32_u24_e32 v5, 0xadc8, v4
	v_mul_u32_u24_e32 v4, 0xd47, v4
	v_sub_nc_u32_e32 v5, v3, v5
	s_delay_alu instid0(VALU_DEP_2) | instskip(SKIP_1) | instid1(VALU_DEP_3)
	v_xor_b32_e32 v6, 0x7fffffff, v4
	v_add_nc_u32_e32 v3, -1, v3
	v_mul_lo_u32 v5, 0xbc8f, v5
	v_sub_nc_u32_e32 v7, 0, v4
	s_delay_alu instid0(VALU_DEP_2) | instskip(NEXT) | instid1(VALU_DEP_2)
	v_cmp_lt_u32_e32 vcc_lo, v5, v4
	v_cndmask_b32_e32 v4, v7, v6, vcc_lo
	s_delay_alu instid0(VALU_DEP_1) | instskip(NEXT) | instid1(VALU_DEP_1)
	v_add_nc_u32_e32 v5, v4, v5
	v_mul_hi_u32 v4, 0xbc8f1391, v5
	s_delay_alu instid0(VALU_DEP_1) | instskip(NEXT) | instid1(VALU_DEP_1)
	v_lshrrev_b32_e32 v4, 15, v4
	v_mul_u32_u24_e32 v6, 0xadc8, v4
	v_mul_u32_u24_e32 v4, 0xd47, v4
	s_delay_alu instid0(VALU_DEP_2) | instskip(NEXT) | instid1(VALU_DEP_2)
	v_sub_nc_u32_e32 v6, v5, v6
	v_xor_b32_e32 v7, 0x7fffffff, v4
	s_delay_alu instid0(VALU_DEP_2) | instskip(SKIP_1) | instid1(VALU_DEP_2)
	v_mul_lo_u32 v6, 0xbc8f, v6
	v_sub_nc_u32_e32 v8, 0, v4
	v_cmp_lt_u32_e32 vcc_lo, v6, v4
	s_delay_alu instid0(VALU_DEP_2) | instskip(NEXT) | instid1(VALU_DEP_1)
	v_dual_cndmask_b32 v4, v8, v7, vcc_lo :: v_dual_add_f32 v8, 1.0, v1
	v_add_nc_u32_e32 v6, v4, v6
	s_delay_alu instid0(VALU_DEP_1) | instskip(NEXT) | instid1(VALU_DEP_1)
	v_mul_hi_u32 v4, 0xbc8f1391, v6
	v_lshrrev_b32_e32 v4, 15, v4
	s_delay_alu instid0(VALU_DEP_1) | instskip(SKIP_2) | instid1(VALU_DEP_3)
	v_mul_u32_u24_e32 v7, 0xadc8, v4
	v_mul_u32_u24_e32 v9, 0xd47, v4
	v_cvt_f32_u32_e32 v4, v3
	v_sub_nc_u32_e32 v7, v6, v7
	s_delay_alu instid0(VALU_DEP_3) | instskip(SKIP_1) | instid1(VALU_DEP_3)
	v_xor_b32_e32 v3, 0x7fffffff, v9
	v_dual_sub_nc_u32 v10, 0, v9 :: v_dual_add_nc_u32 v6, -1, v6
	v_mul_lo_u32 v7, 0xbc8f, v7
	s_delay_alu instid0(VALU_DEP_2) | instskip(NEXT) | instid1(VALU_DEP_2)
	v_cvt_f32_u32_e32 v6, v6
	v_cmp_lt_u32_e32 vcc_lo, v7, v9
	s_delay_alu instid0(VALU_DEP_4) | instskip(NEXT) | instid1(VALU_DEP_1)
	v_dual_add_nc_u32 v5, -1, v5 :: v_dual_cndmask_b32 v3, v10, v3, vcc_lo
	v_cvt_f32_u32_e32 v5, v5
	s_delay_alu instid0(VALU_DEP_2) | instskip(NEXT) | instid1(VALU_DEP_2)
	v_add_nc_u32_e32 v3, v3, v7
	v_pk_fma_f32 v[4:5], v[4:5], s[4:5], 0 op_sel_hi:[1,0,0]
	s_delay_alu instid0(VALU_DEP_1) | instskip(NEXT) | instid1(VALU_DEP_1)
	v_pk_mul_f32 v[4:5], v[4:5], v[4:5]
	v_dual_add_nc_u32 v7, -1, v3 :: v_dual_add_f32 v9, v4, v5
	s_delay_alu instid0(VALU_DEP_1) | instskip(NEXT) | instid1(VALU_DEP_2)
	v_cvt_f32_u32_e32 v7, v7
	v_cmp_gt_f32_e32 vcc_lo, 0xf800000, v9
	s_delay_alu instid0(VALU_DEP_2) | instskip(SKIP_1) | instid1(SALU_CYCLE_1)
	v_pk_fma_f32 v[4:5], v[6:7], s[4:5], 0 op_sel_hi:[1,0,0]
	s_add_co_i32 s5, s5, -2
	s_cmp_lg_u32 s5, 0
	s_delay_alu instid0(VALU_DEP_1) | instskip(NEXT) | instid1(VALU_DEP_1)
	v_pk_mul_f32 v[4:5], v[4:5], v[4:5]
	v_add_f32_e32 v4, v4, v5
	s_delay_alu instid0(VALU_DEP_1) | instskip(NEXT) | instid1(VALU_DEP_1)
	v_dual_mul_f32 v6, 0x4f800000, v9 :: v_dual_mul_f32 v7, 0x4f800000, v4
	v_cndmask_b32_e32 v6, v9, v6, vcc_lo
	v_cmp_gt_f32_e64 s2, 0xf800000, v4
	s_delay_alu instid0(VALU_DEP_2) | instskip(SKIP_1) | instid1(TRANS32_DEP_1)
	v_sqrt_f32_e32 v5, v6
	v_nop
	v_dual_add_nc_u32 v9, -1, v5 :: v_dual_cndmask_b32 v4, v4, v7, s2
	s_delay_alu instid0(VALU_DEP_1) | instskip(NEXT) | instid1(VALU_DEP_2)
	v_dual_add_nc_u32 v7, 1, v5 :: v_dual_fma_f32 v10, -v9, v5, v6
	v_sqrt_f32_e32 v11, v4
	s_delay_alu instid0(VALU_DEP_1) | instskip(NEXT) | instid1(VALU_DEP_2)
	v_fma_f32 v12, -v7, v5, v6
	v_cmp_ge_f32_e64 s3, 0, v10
	s_delay_alu instid0(TRANS32_DEP_1) | instid1(VALU_DEP_1)
	v_dual_cndmask_b32 v5, v5, v9, s3 :: v_dual_add_nc_u32 v9, -1, v11
	s_delay_alu instid0(VALU_DEP_3) | instskip(NEXT) | instid1(VALU_DEP_1)
	v_cmp_lt_f32_e64 s3, 0, v12
	v_cndmask_b32_e64 v5, v5, v7, s3
	s_delay_alu instid0(VALU_DEP_3) | instskip(NEXT) | instid1(VALU_DEP_1)
	v_dual_add_nc_u32 v7, 1, v11 :: v_dual_fma_f32 v10, -v9, v11, v4
	v_fma_f32 v13, -v7, v11, v4
	s_delay_alu instid0(VALU_DEP_2) | instskip(NEXT) | instid1(VALU_DEP_1)
	v_cmp_ge_f32_e64 s3, 0, v10
	v_cndmask_b32_e64 v9, v11, v9, s3
	v_mul_f32_e32 v12, 0x37800000, v5
	s_delay_alu instid0(VALU_DEP_4) | instskip(NEXT) | instid1(VALU_DEP_1)
	v_cmp_lt_f32_e64 s3, 0, v13
	v_cndmask_b32_e64 v7, v9, v7, s3
	s_delay_alu instid0(VALU_DEP_3) | instskip(SKIP_1) | instid1(VALU_DEP_2)
	v_cndmask_b32_e32 v5, v5, v12, vcc_lo
	v_cmp_class_f32_e64 vcc_lo, v6, 0x260
	v_cndmask_b32_e32 v5, v5, v6, vcc_lo
	s_delay_alu instid0(VALU_DEP_1) | instskip(SKIP_2) | instid1(VALU_DEP_2)
	v_cmp_nge_f32_e32 vcc_lo, 1.0, v5
	v_dual_cndmask_b32 v1, v8, v1 :: v_dual_mul_f32 v6, 0x37800000, v7
	v_cmp_class_f32_e64 vcc_lo, v4, 0x260
	v_dual_cndmask_b32 v5, v7, v6, s2 :: v_dual_add_f32 v6, 1.0, v1
	s_delay_alu instid0(VALU_DEP_1) | instskip(NEXT) | instid1(VALU_DEP_1)
	v_cndmask_b32_e32 v4, v5, v4, vcc_lo
	v_cmp_nge_f32_e32 vcc_lo, 1.0, v4
	s_delay_alu instid0(VALU_DEP_3)
	v_cndmask_b32_e32 v1, v6, v1, vcc_lo
	s_cbranch_scc1 .LBB18_9
; %bb.10:
	v_dual_mov_b32 v3, 1 :: v_dual_add_nc_u32 v4, 0x138800, v2
	s_mov_b32 s3, 0
	s_mov_b32 s23, exec_lo
	s_delay_alu instid0(VALU_DEP_1)
	v_cmpx_ne_u32_e32 0, v4
	s_cbranch_execz .LBB18_16
; %bb.11:
	v_mov_b32_e32 v5, 0
	v_mov_b64_e32 v[8:9], 1
	s_mov_b64 s[20:21], 0xbc8f
	s_mov_b64 s[4:5], 0xfffffffd
	;; [unrolled: 1-line block ×3, first 2 shown]
	v_mov_b64_e32 v[6:7], v[4:5]
	s_mov_b64 s[8:9], 0x80000001
	s_mov_b32 s25, 0
	s_branch .LBB18_13
.LBB18_12:                              ;   in Loop: Header=BB18_13 Depth=1
	s_or_b32 exec_lo, exec_lo, s2
	s_mul_u64 s[20:21], s[20:21], s[20:21]
	s_mov_b32 s27, s3
	s_and_b64 s[28:29], s[20:21], s[4:5]
	s_mov_b32 s2, s21
	s_mul_u64 s[30:31], s[28:29], 3
	s_mul_u64 s[34:35], s[2:3], 3
	s_mov_b32 s26, s31
	s_mul_u64 s[28:29], s[28:29], s[8:9]
	s_add_nc_u64 s[26:27], s[34:35], s[26:27]
	v_lshrrev_b64 v[10:11], 1, v[6:7]
	s_and_b64 s[34:35], s[26:27], s[6:7]
	s_mov_b32 s31, s3
	s_add_nc_u64 s[28:29], s[28:29], s[34:35]
	s_mov_b32 s37, s3
	s_mov_b32 s30, s27
	s_mov_b32 s36, s29
	s_mul_u64 s[28:29], s[2:3], s[8:9]
	s_add_nc_u64 s[26:27], s[30:31], s[36:37]
	v_cmp_gt_u64_e32 vcc_lo, 2, v[6:7]
	s_add_nc_u64 s[26:27], s[28:29], s[26:27]
	v_mov_b64_e32 v[6:7], v[10:11]
	s_lshr_b64 s[26:27], s[26:27], 30
	s_delay_alu instid0(SALU_CYCLE_1)
	s_mul_u64 s[26:27], s[26:27], 0x7fffffff
	s_or_b32 s25, vcc_lo, s25
	s_sub_nc_u64 s[20:21], s[20:21], s[26:27]
	s_and_not1_b32 exec_lo, exec_lo, s25
	s_cbranch_execz .LBB18_15
.LBB18_13:                              ; =>This Inner Loop Header: Depth=1
	s_delay_alu instid0(VALU_DEP_1) | instskip(SKIP_1) | instid1(VALU_DEP_1)
	v_and_b32_e32 v3, 1, v6
	s_mov_b32 s2, exec_lo
	v_cmpx_eq_u32_e32 1, v3
	s_cbranch_execz .LBB18_12
; %bb.14:                               ;   in Loop: Header=BB18_13 Depth=1
	v_mul_u64_e32 v[8:9], s[20:21], v[8:9]
	s_delay_alu instid0(VALU_DEP_1) | instskip(NEXT) | instid1(VALU_DEP_1)
	v_mov_b32_e32 v4, v8
	v_mul_u64_e32 v[10:11], 5, v[4:5]
	s_delay_alu instid0(VALU_DEP_1) | instskip(NEXT) | instid1(VALU_DEP_1)
	v_mov_b32_e32 v4, v11
	v_mad_nc_u64_u32 v[10:11], v9, 5, v[4:5]
	s_delay_alu instid0(VALU_DEP_1) | instskip(NEXT) | instid1(VALU_DEP_1)
	v_dual_mov_b32 v4, v11 :: v_dual_mov_b32 v11, v5
	v_mad_nc_u64_u32 v[10:11], v8, 2, v[10:11]
	s_delay_alu instid0(VALU_DEP_1) | instskip(NEXT) | instid1(VALU_DEP_1)
	v_dual_mov_b32 v10, v11 :: v_dual_mov_b32 v11, v5
	v_add_nc_u64_e32 v[10:11], v[4:5], v[10:11]
	s_delay_alu instid0(VALU_DEP_1) | instskip(NEXT) | instid1(VALU_DEP_1)
	v_mad_nc_u64_u32 v[10:11], v9, 2, v[10:11]
	v_sub_nc_u64_e32 v[12:13], v[8:9], v[10:11]
	s_delay_alu instid0(VALU_DEP_1) | instskip(NEXT) | instid1(VALU_DEP_1)
	v_lshrrev_b64 v[12:13], 1, v[12:13]
	v_add_nc_u64_e32 v[10:11], v[12:13], v[10:11]
	s_delay_alu instid0(VALU_DEP_1) | instskip(NEXT) | instid1(VALU_DEP_1)
	v_lshrrev_b64 v[10:11], 30, v[10:11]
	v_mul_u64_e32 v[10:11], 0x7fffffff, v[10:11]
	s_delay_alu instid0(VALU_DEP_1)
	v_sub_nc_u64_e32 v[8:9], v[8:9], v[10:11]
	s_branch .LBB18_12
.LBB18_15:
	s_or_b32 exec_lo, exec_lo, s25
	v_add_min_u32_e64 v3, 0x80000001, v8, v8
	s_delay_alu instid0(VALU_DEP_1)
	v_add_min_u32_e64 v3, 0x80000001, v3, v3
.LBB18_16:
	s_or_b32 exec_lo, exec_lo, s23
	v_mov_b32_e32 v10, 0
	s_movk_i32 s5, 0x1388
	s_brev_b32 s4, 12
.LBB18_17:                              ; =>This Inner Loop Header: Depth=1
	v_mul_hi_u32 v4, 0xbc8f1391, v3
	s_delay_alu instid0(VALU_DEP_1) | instskip(NEXT) | instid1(VALU_DEP_1)
	v_lshrrev_b32_e32 v4, 15, v4
	v_mul_u32_u24_e32 v5, 0xadc8, v4
	s_delay_alu instid0(VALU_DEP_1) | instskip(SKIP_1) | instid1(VALU_DEP_2)
	v_sub_nc_u32_e32 v3, v3, v5
	v_mul_u32_u24_e32 v4, 0xd47, v4
	v_mul_lo_u32 v3, 0xbc8f, v3
	s_delay_alu instid0(VALU_DEP_2) | instskip(SKIP_1) | instid1(VALU_DEP_3)
	v_xor_b32_e32 v5, 0x7fffffff, v4
	v_sub_nc_u32_e32 v6, 0, v4
	v_cmp_lt_u32_e32 vcc_lo, v3, v4
	s_delay_alu instid0(VALU_DEP_2) | instskip(NEXT) | instid1(VALU_DEP_1)
	v_cndmask_b32_e32 v4, v6, v5, vcc_lo
	v_add_nc_u32_e32 v3, v4, v3
	s_delay_alu instid0(VALU_DEP_1) | instskip(NEXT) | instid1(VALU_DEP_1)
	v_mul_hi_u32 v4, 0xbc8f1391, v3
	v_lshrrev_b32_e32 v4, 15, v4
	s_delay_alu instid0(VALU_DEP_1) | instskip(SKIP_1) | instid1(VALU_DEP_2)
	v_mul_u32_u24_e32 v5, 0xadc8, v4
	v_mul_u32_u24_e32 v4, 0xd47, v4
	v_sub_nc_u32_e32 v5, v3, v5
	s_delay_alu instid0(VALU_DEP_2) | instskip(SKIP_1) | instid1(VALU_DEP_3)
	v_xor_b32_e32 v6, 0x7fffffff, v4
	v_add_nc_u32_e32 v3, -1, v3
	v_mul_lo_u32 v5, 0xbc8f, v5
	v_sub_nc_u32_e32 v7, 0, v4
	s_delay_alu instid0(VALU_DEP_2) | instskip(NEXT) | instid1(VALU_DEP_2)
	v_cmp_lt_u32_e32 vcc_lo, v5, v4
	v_cndmask_b32_e32 v4, v7, v6, vcc_lo
	s_delay_alu instid0(VALU_DEP_1) | instskip(NEXT) | instid1(VALU_DEP_1)
	v_add_nc_u32_e32 v5, v4, v5
	v_mul_hi_u32 v4, 0xbc8f1391, v5
	s_delay_alu instid0(VALU_DEP_1) | instskip(NEXT) | instid1(VALU_DEP_1)
	v_lshrrev_b32_e32 v4, 15, v4
	v_mul_u32_u24_e32 v6, 0xadc8, v4
	v_mul_u32_u24_e32 v4, 0xd47, v4
	s_delay_alu instid0(VALU_DEP_2) | instskip(NEXT) | instid1(VALU_DEP_2)
	v_sub_nc_u32_e32 v6, v5, v6
	v_xor_b32_e32 v7, 0x7fffffff, v4
	s_delay_alu instid0(VALU_DEP_2) | instskip(SKIP_1) | instid1(VALU_DEP_2)
	v_mul_lo_u32 v6, 0xbc8f, v6
	v_sub_nc_u32_e32 v8, 0, v4
	v_cmp_lt_u32_e32 vcc_lo, v6, v4
	s_delay_alu instid0(VALU_DEP_2) | instskip(NEXT) | instid1(VALU_DEP_1)
	v_dual_cndmask_b32 v4, v8, v7, vcc_lo :: v_dual_add_f32 v8, 1.0, v10
	v_add_nc_u32_e32 v6, v4, v6
	s_delay_alu instid0(VALU_DEP_1) | instskip(NEXT) | instid1(VALU_DEP_1)
	v_mul_hi_u32 v4, 0xbc8f1391, v6
	v_lshrrev_b32_e32 v4, 15, v4
	s_delay_alu instid0(VALU_DEP_1) | instskip(SKIP_2) | instid1(VALU_DEP_3)
	v_mul_u32_u24_e32 v7, 0xadc8, v4
	v_mul_u32_u24_e32 v9, 0xd47, v4
	v_cvt_f32_u32_e32 v4, v3
	v_sub_nc_u32_e32 v7, v6, v7
	s_delay_alu instid0(VALU_DEP_3) | instskip(SKIP_1) | instid1(VALU_DEP_3)
	v_xor_b32_e32 v3, 0x7fffffff, v9
	v_dual_sub_nc_u32 v11, 0, v9 :: v_dual_add_nc_u32 v6, -1, v6
	v_mul_lo_u32 v7, 0xbc8f, v7
	s_delay_alu instid0(VALU_DEP_2) | instskip(NEXT) | instid1(VALU_DEP_2)
	v_cvt_f32_u32_e32 v6, v6
	v_cmp_lt_u32_e32 vcc_lo, v7, v9
	s_delay_alu instid0(VALU_DEP_4) | instskip(NEXT) | instid1(VALU_DEP_1)
	v_dual_add_nc_u32 v5, -1, v5 :: v_dual_cndmask_b32 v3, v11, v3, vcc_lo
	v_cvt_f32_u32_e32 v5, v5
	s_delay_alu instid0(VALU_DEP_2) | instskip(NEXT) | instid1(VALU_DEP_2)
	v_add_nc_u32_e32 v3, v3, v7
	v_pk_fma_f32 v[4:5], v[4:5], s[4:5], 0 op_sel_hi:[1,0,0]
	s_delay_alu instid0(VALU_DEP_1) | instskip(NEXT) | instid1(VALU_DEP_1)
	v_pk_mul_f32 v[4:5], v[4:5], v[4:5]
	v_dual_add_nc_u32 v7, -1, v3 :: v_dual_add_f32 v9, v4, v5
	s_delay_alu instid0(VALU_DEP_1) | instskip(NEXT) | instid1(VALU_DEP_2)
	v_cvt_f32_u32_e32 v7, v7
	v_cmp_gt_f32_e32 vcc_lo, 0xf800000, v9
	s_delay_alu instid0(VALU_DEP_2) | instskip(SKIP_1) | instid1(SALU_CYCLE_1)
	v_pk_fma_f32 v[4:5], v[6:7], s[4:5], 0 op_sel_hi:[1,0,0]
	s_add_co_i32 s5, s5, -2
	s_cmp_lg_u32 s5, 0
	s_delay_alu instid0(VALU_DEP_1) | instskip(NEXT) | instid1(VALU_DEP_1)
	v_pk_mul_f32 v[4:5], v[4:5], v[4:5]
	v_add_f32_e32 v4, v4, v5
	s_delay_alu instid0(VALU_DEP_1) | instskip(NEXT) | instid1(VALU_DEP_1)
	v_dual_mul_f32 v6, 0x4f800000, v9 :: v_dual_mul_f32 v7, 0x4f800000, v4
	v_cndmask_b32_e32 v6, v9, v6, vcc_lo
	v_cmp_gt_f32_e64 s2, 0xf800000, v4
	s_delay_alu instid0(VALU_DEP_2) | instskip(SKIP_1) | instid1(TRANS32_DEP_1)
	v_sqrt_f32_e32 v5, v6
	v_nop
	v_dual_add_nc_u32 v9, -1, v5 :: v_dual_cndmask_b32 v4, v4, v7, s2
	s_delay_alu instid0(VALU_DEP_1) | instskip(NEXT) | instid1(VALU_DEP_2)
	v_dual_add_nc_u32 v7, 1, v5 :: v_dual_fma_f32 v11, -v9, v5, v6
	v_sqrt_f32_e32 v12, v4
	s_delay_alu instid0(VALU_DEP_1) | instskip(NEXT) | instid1(VALU_DEP_2)
	v_fma_f32 v13, -v7, v5, v6
	v_cmp_ge_f32_e64 s3, 0, v11
	s_delay_alu instid0(TRANS32_DEP_1) | instid1(VALU_DEP_1)
	v_dual_cndmask_b32 v5, v5, v9, s3 :: v_dual_add_nc_u32 v9, -1, v12
	s_delay_alu instid0(VALU_DEP_3) | instskip(NEXT) | instid1(VALU_DEP_2)
	v_cmp_lt_f32_e64 s3, 0, v13
	v_fma_f32 v11, -v9, v12, v4
	s_delay_alu instid0(VALU_DEP_2) | instskip(NEXT) | instid1(VALU_DEP_2)
	v_dual_cndmask_b32 v5, v5, v7, s3 :: v_dual_add_nc_u32 v7, 1, v12
	v_cmp_ge_f32_e64 s3, 0, v11
	s_delay_alu instid0(VALU_DEP_1) | instskip(NEXT) | instid1(VALU_DEP_1)
	v_dual_fma_f32 v14, -v7, v12, v4 :: v_dual_cndmask_b32 v9, v12, v9, s3
	v_cmp_lt_f32_e64 s3, 0, v14
	s_delay_alu instid0(VALU_DEP_1) | instskip(SKIP_1) | instid1(VALU_DEP_1)
	v_cndmask_b32_e64 v7, v9, v7, s3
	v_mul_f32_e32 v13, 0x37800000, v5
	v_cndmask_b32_e32 v5, v5, v13, vcc_lo
	v_cmp_class_f32_e64 vcc_lo, v6, 0x260
	s_delay_alu instid0(VALU_DEP_2) | instskip(NEXT) | instid1(VALU_DEP_1)
	v_cndmask_b32_e32 v5, v5, v6, vcc_lo
	v_cmp_nge_f32_e32 vcc_lo, 1.0, v5
	v_dual_cndmask_b32 v5, v8, v10 :: v_dual_mul_f32 v6, 0x37800000, v7
	v_cmp_class_f32_e64 vcc_lo, v4, 0x260
	s_delay_alu instid0(VALU_DEP_2) | instskip(NEXT) | instid1(VALU_DEP_1)
	v_dual_cndmask_b32 v6, v7, v6, s2 :: v_dual_add_f32 v7, 1.0, v5
	v_cndmask_b32_e32 v4, v6, v4, vcc_lo
	s_delay_alu instid0(VALU_DEP_1) | instskip(NEXT) | instid1(VALU_DEP_3)
	v_cmp_nge_f32_e32 vcc_lo, 1.0, v4
	v_cndmask_b32_e32 v10, v7, v5, vcc_lo
	s_cbranch_scc1 .LBB18_17
; %bb.18:
	v_dual_mov_b32 v3, 1 :: v_dual_add_nc_u32 v4, 0x271000, v2
	s_mov_b32 s3, 0
	s_mov_b32 s23, exec_lo
	s_delay_alu instid0(VALU_DEP_1)
	v_cmpx_ne_u32_e32 0, v4
	s_cbranch_execz .LBB18_24
; %bb.19:
	v_mov_b32_e32 v5, 0
	v_mov_b64_e32 v[8:9], 1
	s_mov_b64 s[20:21], 0xbc8f
	s_mov_b64 s[4:5], 0xfffffffd
	;; [unrolled: 1-line block ×3, first 2 shown]
	v_mov_b64_e32 v[6:7], v[4:5]
	s_mov_b64 s[8:9], 0x80000001
	s_mov_b32 s25, 0
	s_branch .LBB18_21
.LBB18_20:                              ;   in Loop: Header=BB18_21 Depth=1
	s_or_b32 exec_lo, exec_lo, s2
	s_mul_u64 s[20:21], s[20:21], s[20:21]
	s_mov_b32 s27, s3
	s_and_b64 s[28:29], s[20:21], s[4:5]
	s_mov_b32 s2, s21
	s_mul_u64 s[30:31], s[28:29], 3
	s_mul_u64 s[34:35], s[2:3], 3
	s_mov_b32 s26, s31
	s_mul_u64 s[28:29], s[28:29], s[8:9]
	s_add_nc_u64 s[26:27], s[34:35], s[26:27]
	v_lshrrev_b64 v[12:13], 1, v[6:7]
	s_and_b64 s[34:35], s[26:27], s[6:7]
	s_mov_b32 s31, s3
	s_add_nc_u64 s[28:29], s[28:29], s[34:35]
	s_mov_b32 s37, s3
	s_mov_b32 s30, s27
	;; [unrolled: 1-line block ×3, first 2 shown]
	s_mul_u64 s[28:29], s[2:3], s[8:9]
	s_add_nc_u64 s[26:27], s[30:31], s[36:37]
	v_cmp_gt_u64_e32 vcc_lo, 2, v[6:7]
	s_add_nc_u64 s[26:27], s[28:29], s[26:27]
	v_mov_b64_e32 v[6:7], v[12:13]
	s_lshr_b64 s[26:27], s[26:27], 30
	s_delay_alu instid0(SALU_CYCLE_1)
	s_mul_u64 s[26:27], s[26:27], 0x7fffffff
	s_or_b32 s25, vcc_lo, s25
	s_sub_nc_u64 s[20:21], s[20:21], s[26:27]
	s_and_not1_b32 exec_lo, exec_lo, s25
	s_cbranch_execz .LBB18_23
.LBB18_21:                              ; =>This Inner Loop Header: Depth=1
	s_delay_alu instid0(VALU_DEP_1) | instskip(SKIP_1) | instid1(VALU_DEP_1)
	v_and_b32_e32 v3, 1, v6
	s_mov_b32 s2, exec_lo
	v_cmpx_eq_u32_e32 1, v3
	s_cbranch_execz .LBB18_20
; %bb.22:                               ;   in Loop: Header=BB18_21 Depth=1
	v_mul_u64_e32 v[8:9], s[20:21], v[8:9]
	s_delay_alu instid0(VALU_DEP_1) | instskip(NEXT) | instid1(VALU_DEP_1)
	v_mov_b32_e32 v4, v8
	v_mul_u64_e32 v[12:13], 5, v[4:5]
	s_delay_alu instid0(VALU_DEP_1) | instskip(NEXT) | instid1(VALU_DEP_1)
	v_mov_b32_e32 v4, v13
	v_mad_nc_u64_u32 v[12:13], v9, 5, v[4:5]
	s_delay_alu instid0(VALU_DEP_1) | instskip(NEXT) | instid1(VALU_DEP_1)
	v_dual_mov_b32 v4, v13 :: v_dual_mov_b32 v13, v5
	v_mad_nc_u64_u32 v[12:13], v8, 2, v[12:13]
	s_delay_alu instid0(VALU_DEP_1) | instskip(NEXT) | instid1(VALU_DEP_1)
	v_dual_mov_b32 v12, v13 :: v_dual_mov_b32 v13, v5
	v_add_nc_u64_e32 v[12:13], v[4:5], v[12:13]
	s_delay_alu instid0(VALU_DEP_1) | instskip(NEXT) | instid1(VALU_DEP_1)
	v_mad_nc_u64_u32 v[12:13], v9, 2, v[12:13]
	v_sub_nc_u64_e32 v[14:15], v[8:9], v[12:13]
	s_delay_alu instid0(VALU_DEP_1) | instskip(NEXT) | instid1(VALU_DEP_1)
	v_lshrrev_b64 v[14:15], 1, v[14:15]
	v_add_nc_u64_e32 v[12:13], v[14:15], v[12:13]
	s_delay_alu instid0(VALU_DEP_1) | instskip(NEXT) | instid1(VALU_DEP_1)
	v_lshrrev_b64 v[12:13], 30, v[12:13]
	v_mul_u64_e32 v[12:13], 0x7fffffff, v[12:13]
	s_delay_alu instid0(VALU_DEP_1)
	v_sub_nc_u64_e32 v[8:9], v[8:9], v[12:13]
	s_branch .LBB18_20
.LBB18_23:
	s_or_b32 exec_lo, exec_lo, s25
	v_add_min_u32_e64 v3, 0x80000001, v8, v8
	s_delay_alu instid0(VALU_DEP_1)
	v_add_min_u32_e64 v3, 0x80000001, v3, v3
.LBB18_24:
	s_or_b32 exec_lo, exec_lo, s23
	v_mov_b32_e32 v8, 0
	s_movk_i32 s5, 0x1388
	s_brev_b32 s4, 12
.LBB18_25:                              ; =>This Inner Loop Header: Depth=1
	v_mul_hi_u32 v4, 0xbc8f1391, v3
	s_delay_alu instid0(VALU_DEP_1) | instskip(NEXT) | instid1(VALU_DEP_1)
	v_lshrrev_b32_e32 v4, 15, v4
	v_mul_u32_u24_e32 v5, 0xadc8, v4
	s_delay_alu instid0(VALU_DEP_1) | instskip(SKIP_1) | instid1(VALU_DEP_2)
	v_sub_nc_u32_e32 v3, v3, v5
	v_mul_u32_u24_e32 v4, 0xd47, v4
	v_mul_lo_u32 v3, 0xbc8f, v3
	s_delay_alu instid0(VALU_DEP_2) | instskip(SKIP_1) | instid1(VALU_DEP_3)
	v_xor_b32_e32 v5, 0x7fffffff, v4
	v_sub_nc_u32_e32 v6, 0, v4
	v_cmp_lt_u32_e32 vcc_lo, v3, v4
	s_delay_alu instid0(VALU_DEP_2) | instskip(NEXT) | instid1(VALU_DEP_1)
	v_cndmask_b32_e32 v4, v6, v5, vcc_lo
	v_add_nc_u32_e32 v3, v4, v3
	s_delay_alu instid0(VALU_DEP_1) | instskip(NEXT) | instid1(VALU_DEP_1)
	v_mul_hi_u32 v4, 0xbc8f1391, v3
	v_lshrrev_b32_e32 v4, 15, v4
	s_delay_alu instid0(VALU_DEP_1) | instskip(SKIP_1) | instid1(VALU_DEP_2)
	v_mul_u32_u24_e32 v5, 0xadc8, v4
	v_mul_u32_u24_e32 v4, 0xd47, v4
	v_sub_nc_u32_e32 v5, v3, v5
	s_delay_alu instid0(VALU_DEP_2) | instskip(SKIP_1) | instid1(VALU_DEP_3)
	v_xor_b32_e32 v6, 0x7fffffff, v4
	v_add_nc_u32_e32 v3, -1, v3
	v_mul_lo_u32 v5, 0xbc8f, v5
	v_sub_nc_u32_e32 v7, 0, v4
	s_delay_alu instid0(VALU_DEP_2) | instskip(NEXT) | instid1(VALU_DEP_2)
	v_cmp_lt_u32_e32 vcc_lo, v5, v4
	v_cndmask_b32_e32 v4, v7, v6, vcc_lo
	s_delay_alu instid0(VALU_DEP_1) | instskip(NEXT) | instid1(VALU_DEP_1)
	v_add_nc_u32_e32 v5, v4, v5
	v_mul_hi_u32 v4, 0xbc8f1391, v5
	s_delay_alu instid0(VALU_DEP_1) | instskip(NEXT) | instid1(VALU_DEP_1)
	v_lshrrev_b32_e32 v4, 15, v4
	v_mul_u32_u24_e32 v6, 0xadc8, v4
	v_mul_u32_u24_e32 v4, 0xd47, v4
	s_delay_alu instid0(VALU_DEP_2) | instskip(NEXT) | instid1(VALU_DEP_2)
	v_sub_nc_u32_e32 v6, v5, v6
	v_xor_b32_e32 v7, 0x7fffffff, v4
	v_add_nc_u32_e32 v5, -1, v5
	s_delay_alu instid0(VALU_DEP_3) | instskip(SKIP_1) | instid1(VALU_DEP_3)
	v_mul_lo_u32 v6, 0xbc8f, v6
	v_sub_nc_u32_e32 v9, 0, v4
	v_cvt_f32_u32_e32 v5, v5
	s_delay_alu instid0(VALU_DEP_3) | instskip(NEXT) | instid1(VALU_DEP_3)
	v_cmp_lt_u32_e32 vcc_lo, v6, v4
	v_dual_cndmask_b32 v4, v9, v7 :: v_dual_add_f32 v9, 1.0, v8
	s_delay_alu instid0(VALU_DEP_1) | instskip(NEXT) | instid1(VALU_DEP_1)
	v_add_nc_u32_e32 v6, v4, v6
	v_mul_hi_u32 v4, 0xbc8f1391, v6
	s_delay_alu instid0(VALU_DEP_1) | instskip(NEXT) | instid1(VALU_DEP_1)
	v_lshrrev_b32_e32 v4, 15, v4
	v_mul_u32_u24_e32 v7, 0xadc8, v4
	v_mul_u32_u24_e32 v11, 0xd47, v4
	v_cvt_f32_u32_e32 v4, v3
	s_delay_alu instid0(VALU_DEP_3) | instskip(NEXT) | instid1(VALU_DEP_3)
	v_sub_nc_u32_e32 v7, v6, v7
	v_xor_b32_e32 v3, 0x7fffffff, v11
	s_delay_alu instid0(VALU_DEP_3) | instskip(SKIP_1) | instid1(VALU_DEP_4)
	v_pk_fma_f32 v[4:5], v[4:5], s[4:5], 0 op_sel_hi:[1,0,0]
	v_dual_sub_nc_u32 v12, 0, v11 :: v_dual_add_nc_u32 v6, -1, v6
	v_mul_lo_u32 v7, 0xbc8f, v7
	s_delay_alu instid0(VALU_DEP_3) | instskip(NEXT) | instid1(VALU_DEP_3)
	v_pk_mul_f32 v[4:5], v[4:5], v[4:5]
	v_cvt_f32_u32_e32 v6, v6
	s_delay_alu instid0(VALU_DEP_3) | instskip(NEXT) | instid1(VALU_DEP_3)
	v_cmp_lt_u32_e32 vcc_lo, v7, v11
	v_add_f32_e32 v11, v4, v5
	v_cndmask_b32_e32 v3, v12, v3, vcc_lo
	s_delay_alu instid0(VALU_DEP_1) | instskip(NEXT) | instid1(VALU_DEP_1)
	v_add_nc_u32_e32 v3, v3, v7
	v_add_nc_u32_e32 v7, -1, v3
	s_delay_alu instid0(VALU_DEP_1) | instskip(NEXT) | instid1(VALU_DEP_1)
	v_cvt_f32_u32_e32 v7, v7
	v_pk_fma_f32 v[4:5], v[6:7], s[4:5], 0 op_sel_hi:[1,0,0]
	s_add_co_i32 s5, s5, -2
	s_delay_alu instid0(SALU_CYCLE_1) | instskip(NEXT) | instid1(VALU_DEP_1)
	s_cmp_lg_u32 s5, 0
	v_pk_mul_f32 v[4:5], v[4:5], v[4:5]
	s_delay_alu instid0(VALU_DEP_1) | instskip(NEXT) | instid1(VALU_DEP_1)
	v_add_f32_e32 v4, v4, v5
	v_mul_f32_e32 v7, 0x4f800000, v4
	v_cmp_gt_f32_e64 s2, 0xf800000, v4
	s_delay_alu instid0(VALU_DEP_1) | instskip(SKIP_2) | instid1(VALU_DEP_3)
	v_cndmask_b32_e64 v4, v4, v7, s2
	v_mul_f32_e32 v6, 0x4f800000, v11
	v_cmp_gt_f32_e32 vcc_lo, 0xf800000, v11
	v_sqrt_f32_e32 v13, v4
	s_delay_alu instid0(VALU_DEP_2) | instskip(NEXT) | instid1(VALU_DEP_1)
	v_cndmask_b32_e32 v6, v11, v6, vcc_lo
	v_sqrt_f32_e32 v5, v6
	v_nop
	s_delay_alu instid0(TRANS32_DEP_1) | instskip(NEXT) | instid1(VALU_DEP_1)
	v_dual_add_nc_u32 v11, -1, v5 :: v_dual_add_nc_u32 v7, 1, v5
	v_fma_f32 v12, -v11, v5, v6
	s_delay_alu instid0(VALU_DEP_2) | instskip(NEXT) | instid1(VALU_DEP_2)
	v_fma_f32 v14, -v7, v5, v6
	v_cmp_ge_f32_e64 s3, 0, v12
	s_delay_alu instid0(VALU_DEP_1) | instskip(NEXT) | instid1(VALU_DEP_3)
	v_cndmask_b32_e64 v5, v5, v11, s3
	v_cmp_lt_f32_e64 s3, 0, v14
	s_delay_alu instid0(VALU_DEP_1) | instskip(NEXT) | instid1(VALU_DEP_1)
	v_dual_add_nc_u32 v11, -1, v13 :: v_dual_cndmask_b32 v5, v5, v7, s3
	v_dual_add_nc_u32 v7, 1, v13 :: v_dual_fma_f32 v12, -v11, v13, v4
	s_delay_alu instid0(VALU_DEP_2) | instskip(NEXT) | instid1(VALU_DEP_2)
	v_mul_f32_e32 v14, 0x37800000, v5
	v_fma_f32 v15, -v7, v13, v4
	s_delay_alu instid0(VALU_DEP_3) | instskip(NEXT) | instid1(VALU_DEP_3)
	v_cmp_ge_f32_e64 s3, 0, v12
	v_cndmask_b32_e32 v5, v5, v14, vcc_lo
	v_cmp_class_f32_e64 vcc_lo, v6, 0x260
	s_delay_alu instid0(VALU_DEP_3) | instskip(SKIP_1) | instid1(VALU_DEP_4)
	v_cndmask_b32_e64 v11, v13, v11, s3
	v_cmp_lt_f32_e64 s3, 0, v15
	v_cndmask_b32_e32 v5, v5, v6, vcc_lo
	s_delay_alu instid0(VALU_DEP_1) | instskip(NEXT) | instid1(VALU_DEP_3)
	v_cmp_nge_f32_e32 vcc_lo, 1.0, v5
	v_dual_cndmask_b32 v7, v11, v7, s3 :: v_dual_cndmask_b32 v5, v9, v8, vcc_lo
	s_delay_alu instid0(VALU_DEP_1) | instskip(SKIP_1) | instid1(VALU_DEP_2)
	v_mul_f32_e32 v6, 0x37800000, v7
	v_cmp_class_f32_e64 vcc_lo, v4, 0x260
	v_dual_cndmask_b32 v6, v7, v6, s2 :: v_dual_add_f32 v7, 1.0, v5
	s_delay_alu instid0(VALU_DEP_1) | instskip(NEXT) | instid1(VALU_DEP_1)
	v_cndmask_b32_e32 v4, v6, v4, vcc_lo
	v_cmp_nge_f32_e32 vcc_lo, 1.0, v4
	s_delay_alu instid0(VALU_DEP_3)
	v_cndmask_b32_e32 v8, v7, v5, vcc_lo
	s_cbranch_scc1 .LBB18_25
; %bb.26:
	v_dual_mov_b32 v3, 1 :: v_dual_add_nc_u32 v2, 0x3a9800, v2
	s_mov_b32 s3, 0
	s_mov_b32 s23, exec_lo
	s_delay_alu instid0(VALU_DEP_1)
	v_cmpx_ne_u32_e32 0, v2
	s_cbranch_execz .LBB18_32
; %bb.27:
	v_mov_b32_e32 v3, 0
	v_mov_b64_e32 v[6:7], 1
	s_mov_b64 s[20:21], 0xbc8f
	s_mov_b64 s[4:5], 0xfffffffd
	;; [unrolled: 1-line block ×3, first 2 shown]
	v_mov_b64_e32 v[4:5], v[2:3]
	s_mov_b64 s[8:9], 0x80000001
	s_mov_b32 s25, 0
	s_branch .LBB18_29
.LBB18_28:                              ;   in Loop: Header=BB18_29 Depth=1
	s_or_b32 exec_lo, exec_lo, s2
	s_mul_u64 s[20:21], s[20:21], s[20:21]
	s_mov_b32 s27, s3
	s_and_b64 s[28:29], s[20:21], s[4:5]
	s_mov_b32 s2, s21
	s_mul_u64 s[30:31], s[28:29], 3
	s_mul_u64 s[34:35], s[2:3], 3
	s_mov_b32 s26, s31
	s_mul_u64 s[28:29], s[28:29], s[8:9]
	s_add_nc_u64 s[26:27], s[34:35], s[26:27]
	v_lshrrev_b64 v[12:13], 1, v[4:5]
	s_and_b64 s[34:35], s[26:27], s[6:7]
	s_mov_b32 s31, s3
	s_add_nc_u64 s[28:29], s[28:29], s[34:35]
	s_mov_b32 s37, s3
	s_mov_b32 s30, s27
	;; [unrolled: 1-line block ×3, first 2 shown]
	s_mul_u64 s[28:29], s[2:3], s[8:9]
	s_add_nc_u64 s[26:27], s[30:31], s[36:37]
	v_cmp_gt_u64_e32 vcc_lo, 2, v[4:5]
	s_add_nc_u64 s[26:27], s[28:29], s[26:27]
	v_mov_b64_e32 v[4:5], v[12:13]
	s_lshr_b64 s[26:27], s[26:27], 30
	s_delay_alu instid0(SALU_CYCLE_1)
	s_mul_u64 s[26:27], s[26:27], 0x7fffffff
	s_or_b32 s25, vcc_lo, s25
	s_sub_nc_u64 s[20:21], s[20:21], s[26:27]
	s_and_not1_b32 exec_lo, exec_lo, s25
	s_cbranch_execz .LBB18_31
.LBB18_29:                              ; =>This Inner Loop Header: Depth=1
	s_delay_alu instid0(VALU_DEP_1) | instskip(SKIP_1) | instid1(VALU_DEP_1)
	v_and_b32_e32 v2, 1, v4
	s_mov_b32 s2, exec_lo
	v_cmpx_eq_u32_e32 1, v2
	s_cbranch_execz .LBB18_28
; %bb.30:                               ;   in Loop: Header=BB18_29 Depth=1
	v_mul_u64_e32 v[6:7], s[20:21], v[6:7]
	s_delay_alu instid0(VALU_DEP_1) | instskip(NEXT) | instid1(VALU_DEP_1)
	v_mov_b32_e32 v2, v6
	v_mul_u64_e32 v[12:13], 5, v[2:3]
	s_delay_alu instid0(VALU_DEP_1) | instskip(NEXT) | instid1(VALU_DEP_1)
	v_mov_b32_e32 v2, v13
	v_mad_nc_u64_u32 v[12:13], v7, 5, v[2:3]
	s_delay_alu instid0(VALU_DEP_1) | instskip(NEXT) | instid1(VALU_DEP_1)
	v_dual_mov_b32 v2, v13 :: v_dual_mov_b32 v13, v3
	v_mad_nc_u64_u32 v[12:13], v6, 2, v[12:13]
	s_delay_alu instid0(VALU_DEP_1) | instskip(NEXT) | instid1(VALU_DEP_1)
	v_dual_mov_b32 v12, v13 :: v_dual_mov_b32 v13, v3
	v_add_nc_u64_e32 v[12:13], v[2:3], v[12:13]
	s_delay_alu instid0(VALU_DEP_1) | instskip(NEXT) | instid1(VALU_DEP_1)
	v_mad_nc_u64_u32 v[12:13], v7, 2, v[12:13]
	v_sub_nc_u64_e32 v[14:15], v[6:7], v[12:13]
	s_delay_alu instid0(VALU_DEP_1) | instskip(NEXT) | instid1(VALU_DEP_1)
	v_lshrrev_b64 v[14:15], 1, v[14:15]
	v_add_nc_u64_e32 v[12:13], v[14:15], v[12:13]
	s_delay_alu instid0(VALU_DEP_1) | instskip(NEXT) | instid1(VALU_DEP_1)
	v_lshrrev_b64 v[12:13], 30, v[12:13]
	v_mul_u64_e32 v[12:13], 0x7fffffff, v[12:13]
	s_delay_alu instid0(VALU_DEP_1)
	v_sub_nc_u64_e32 v[6:7], v[6:7], v[12:13]
	s_branch .LBB18_28
.LBB18_31:
	s_or_b32 exec_lo, exec_lo, s25
	v_add_min_u32_e64 v2, 0x80000001, v6, v6
	s_delay_alu instid0(VALU_DEP_1)
	v_add_min_u32_e64 v3, 0x80000001, v2, v2
.LBB18_32:
	s_or_b32 exec_lo, exec_lo, s23
	v_mov_b32_e32 v2, 0
	s_movk_i32 s5, 0x1388
	s_brev_b32 s4, 12
.LBB18_33:                              ; =>This Inner Loop Header: Depth=1
	v_mul_hi_u32 v4, 0xbc8f1391, v3
	s_delay_alu instid0(VALU_DEP_1) | instskip(NEXT) | instid1(VALU_DEP_1)
	v_lshrrev_b32_e32 v4, 15, v4
	v_mul_u32_u24_e32 v5, 0xadc8, v4
	s_delay_alu instid0(VALU_DEP_1) | instskip(SKIP_1) | instid1(VALU_DEP_2)
	v_sub_nc_u32_e32 v3, v3, v5
	v_mul_u32_u24_e32 v4, 0xd47, v4
	v_mul_lo_u32 v3, 0xbc8f, v3
	s_delay_alu instid0(VALU_DEP_2) | instskip(SKIP_1) | instid1(VALU_DEP_3)
	v_xor_b32_e32 v5, 0x7fffffff, v4
	v_sub_nc_u32_e32 v6, 0, v4
	v_cmp_lt_u32_e32 vcc_lo, v3, v4
	s_delay_alu instid0(VALU_DEP_2) | instskip(NEXT) | instid1(VALU_DEP_1)
	v_cndmask_b32_e32 v4, v6, v5, vcc_lo
	v_add_nc_u32_e32 v3, v4, v3
	s_delay_alu instid0(VALU_DEP_1) | instskip(NEXT) | instid1(VALU_DEP_1)
	v_mul_hi_u32 v4, 0xbc8f1391, v3
	v_lshrrev_b32_e32 v4, 15, v4
	s_delay_alu instid0(VALU_DEP_1) | instskip(SKIP_1) | instid1(VALU_DEP_2)
	v_mul_u32_u24_e32 v5, 0xadc8, v4
	v_mul_u32_u24_e32 v4, 0xd47, v4
	v_sub_nc_u32_e32 v5, v3, v5
	s_delay_alu instid0(VALU_DEP_2) | instskip(SKIP_1) | instid1(VALU_DEP_3)
	v_xor_b32_e32 v6, 0x7fffffff, v4
	v_add_nc_u32_e32 v3, -1, v3
	v_mul_lo_u32 v5, 0xbc8f, v5
	v_sub_nc_u32_e32 v7, 0, v4
	s_delay_alu instid0(VALU_DEP_2) | instskip(NEXT) | instid1(VALU_DEP_2)
	v_cmp_lt_u32_e32 vcc_lo, v5, v4
	v_cndmask_b32_e32 v4, v7, v6, vcc_lo
	s_delay_alu instid0(VALU_DEP_1) | instskip(NEXT) | instid1(VALU_DEP_1)
	v_add_nc_u32_e32 v5, v4, v5
	v_mul_hi_u32 v4, 0xbc8f1391, v5
	s_delay_alu instid0(VALU_DEP_1) | instskip(NEXT) | instid1(VALU_DEP_1)
	v_lshrrev_b32_e32 v4, 15, v4
	v_mul_u32_u24_e32 v6, 0xadc8, v4
	v_mul_u32_u24_e32 v4, 0xd47, v4
	s_delay_alu instid0(VALU_DEP_2) | instskip(NEXT) | instid1(VALU_DEP_2)
	v_sub_nc_u32_e32 v6, v5, v6
	v_xor_b32_e32 v7, 0x7fffffff, v4
	v_add_nc_u32_e32 v5, -1, v5
	s_delay_alu instid0(VALU_DEP_3) | instskip(SKIP_1) | instid1(VALU_DEP_3)
	v_mul_lo_u32 v6, 0xbc8f, v6
	v_sub_nc_u32_e32 v9, 0, v4
	v_cvt_f32_u32_e32 v5, v5
	s_delay_alu instid0(VALU_DEP_3) | instskip(NEXT) | instid1(VALU_DEP_3)
	v_cmp_lt_u32_e32 vcc_lo, v6, v4
	v_dual_cndmask_b32 v4, v9, v7 :: v_dual_add_f32 v9, 1.0, v2
	s_delay_alu instid0(VALU_DEP_1) | instskip(NEXT) | instid1(VALU_DEP_1)
	v_add_nc_u32_e32 v6, v4, v6
	v_mul_hi_u32 v4, 0xbc8f1391, v6
	s_delay_alu instid0(VALU_DEP_1) | instskip(NEXT) | instid1(VALU_DEP_1)
	v_lshrrev_b32_e32 v4, 15, v4
	v_mul_u32_u24_e32 v7, 0xadc8, v4
	v_mul_u32_u24_e32 v11, 0xd47, v4
	v_cvt_f32_u32_e32 v4, v3
	s_delay_alu instid0(VALU_DEP_3) | instskip(NEXT) | instid1(VALU_DEP_3)
	v_sub_nc_u32_e32 v7, v6, v7
	v_xor_b32_e32 v3, 0x7fffffff, v11
	s_delay_alu instid0(VALU_DEP_3) | instskip(SKIP_1) | instid1(VALU_DEP_4)
	v_pk_fma_f32 v[4:5], v[4:5], s[4:5], 0 op_sel_hi:[1,0,0]
	v_dual_sub_nc_u32 v12, 0, v11 :: v_dual_add_nc_u32 v6, -1, v6
	v_mul_lo_u32 v7, 0xbc8f, v7
	s_delay_alu instid0(VALU_DEP_3) | instskip(NEXT) | instid1(VALU_DEP_3)
	v_pk_mul_f32 v[4:5], v[4:5], v[4:5]
	v_cvt_f32_u32_e32 v6, v6
	s_delay_alu instid0(VALU_DEP_3) | instskip(NEXT) | instid1(VALU_DEP_3)
	v_cmp_lt_u32_e32 vcc_lo, v7, v11
	v_add_f32_e32 v11, v4, v5
	v_cndmask_b32_e32 v3, v12, v3, vcc_lo
	s_delay_alu instid0(VALU_DEP_1) | instskip(NEXT) | instid1(VALU_DEP_1)
	v_add_nc_u32_e32 v3, v3, v7
	v_add_nc_u32_e32 v7, -1, v3
	s_delay_alu instid0(VALU_DEP_1) | instskip(NEXT) | instid1(VALU_DEP_1)
	v_cvt_f32_u32_e32 v7, v7
	v_pk_fma_f32 v[4:5], v[6:7], s[4:5], 0 op_sel_hi:[1,0,0]
	s_add_co_i32 s5, s5, -2
	s_delay_alu instid0(SALU_CYCLE_1) | instskip(NEXT) | instid1(VALU_DEP_1)
	s_cmp_lg_u32 s5, 0
	v_pk_mul_f32 v[4:5], v[4:5], v[4:5]
	s_delay_alu instid0(VALU_DEP_1) | instskip(NEXT) | instid1(VALU_DEP_1)
	v_add_f32_e32 v4, v4, v5
	v_mul_f32_e32 v7, 0x4f800000, v4
	v_cmp_gt_f32_e64 s2, 0xf800000, v4
	s_delay_alu instid0(VALU_DEP_1) | instskip(SKIP_2) | instid1(VALU_DEP_3)
	v_cndmask_b32_e64 v4, v4, v7, s2
	v_mul_f32_e32 v6, 0x4f800000, v11
	v_cmp_gt_f32_e32 vcc_lo, 0xf800000, v11
	v_sqrt_f32_e32 v13, v4
	s_delay_alu instid0(VALU_DEP_2) | instskip(NEXT) | instid1(VALU_DEP_1)
	v_cndmask_b32_e32 v6, v11, v6, vcc_lo
	v_sqrt_f32_e32 v5, v6
	v_nop
	s_delay_alu instid0(TRANS32_DEP_1) | instskip(NEXT) | instid1(VALU_DEP_1)
	v_dual_add_nc_u32 v11, -1, v5 :: v_dual_add_nc_u32 v7, 1, v5
	v_fma_f32 v12, -v11, v5, v6
	s_delay_alu instid0(VALU_DEP_2) | instskip(NEXT) | instid1(VALU_DEP_2)
	v_fma_f32 v14, -v7, v5, v6
	v_cmp_ge_f32_e64 s3, 0, v12
	s_delay_alu instid0(VALU_DEP_1) | instskip(NEXT) | instid1(VALU_DEP_3)
	v_cndmask_b32_e64 v5, v5, v11, s3
	v_cmp_lt_f32_e64 s3, 0, v14
	s_delay_alu instid0(VALU_DEP_1) | instskip(NEXT) | instid1(VALU_DEP_1)
	v_dual_add_nc_u32 v11, -1, v13 :: v_dual_cndmask_b32 v5, v5, v7, s3
	v_dual_add_nc_u32 v7, 1, v13 :: v_dual_fma_f32 v12, -v11, v13, v4
	s_delay_alu instid0(VALU_DEP_2) | instskip(NEXT) | instid1(VALU_DEP_2)
	v_mul_f32_e32 v14, 0x37800000, v5
	v_fma_f32 v15, -v7, v13, v4
	s_delay_alu instid0(VALU_DEP_3) | instskip(NEXT) | instid1(VALU_DEP_3)
	v_cmp_ge_f32_e64 s3, 0, v12
	v_cndmask_b32_e32 v5, v5, v14, vcc_lo
	v_cmp_class_f32_e64 vcc_lo, v6, 0x260
	s_delay_alu instid0(VALU_DEP_3) | instskip(SKIP_1) | instid1(VALU_DEP_4)
	v_cndmask_b32_e64 v11, v13, v11, s3
	v_cmp_lt_f32_e64 s3, 0, v15
	v_cndmask_b32_e32 v5, v5, v6, vcc_lo
	s_delay_alu instid0(VALU_DEP_1) | instskip(NEXT) | instid1(VALU_DEP_3)
	v_cmp_nge_f32_e32 vcc_lo, 1.0, v5
	v_dual_cndmask_b32 v2, v9, v2, vcc_lo :: v_dual_cndmask_b32 v7, v11, v7, s3
	v_cmp_class_f32_e64 vcc_lo, v4, 0x260
	s_delay_alu instid0(VALU_DEP_2) | instskip(NEXT) | instid1(VALU_DEP_1)
	v_mul_f32_e32 v6, 0x37800000, v7
	v_cndmask_b32_e64 v5, v7, v6, s2
	s_delay_alu instid0(VALU_DEP_1) | instskip(NEXT) | instid1(VALU_DEP_1)
	v_dual_add_f32 v6, 1.0, v2 :: v_dual_cndmask_b32 v4, v5, v4, vcc_lo
	v_cmp_nge_f32_e32 vcc_lo, 1.0, v4
	s_delay_alu instid0(VALU_DEP_2)
	v_cndmask_b32_e32 v2, v6, v2, vcc_lo
	s_cbranch_scc1 .LBB18_33
; %bb.34:
	v_dual_mul_f32 v3, 4.0, v8 :: v_dual_mul_f32 v4, 4.0, v10
	s_delay_alu instid0(VALU_DEP_2) | instskip(NEXT) | instid1(VALU_DEP_2)
	v_dual_mul_f32 v1, 4.0, v1 :: v_dual_mul_f32 v2, 4.0, v2
	v_div_scale_f32 v5, null, 0x459c4000, 0x459c4000, v3
	s_delay_alu instid0(VALU_DEP_3) | instskip(NEXT) | instid1(VALU_DEP_3)
	v_div_scale_f32 v6, null, 0x459c4000, 0x459c4000, v4
	v_div_scale_f32 v7, null, 0x459c4000, 0x459c4000, v1
	s_delay_alu instid0(VALU_DEP_3) | instskip(NEXT) | instid1(VALU_DEP_2)
	v_rcp_f32_e32 v8, v5
	v_rcp_f32_e32 v9, v6
	v_div_scale_f32 v14, null, 0x459c4000, 0x459c4000, v2
	s_delay_alu instid0(VALU_DEP_2) | instskip(SKIP_1) | instid1(TRANS32_DEP_3)
	v_rcp_f32_e32 v10, v7
	v_div_scale_f32 v11, vcc_lo, v3, 0x459c4000, v3
	v_fma_f32 v12, -v5, v8, 1.0
	s_delay_alu instid0(TRANS32_DEP_2) | instskip(NEXT) | instid1(TRANS32_DEP_1)
	v_fma_f32 v13, -v6, v9, 1.0
	v_fma_f32 v15, -v7, v10, 1.0
	s_delay_alu instid0(VALU_DEP_2) | instskip(SKIP_1) | instid1(VALU_DEP_3)
	v_dual_fmac_f32 v8, v12, v8 :: v_dual_fmac_f32 v9, v13, v9
	v_div_scale_f32 v12, s2, v4, 0x459c4000, v4
	v_fmac_f32_e32 v10, v15, v10
	v_div_scale_f32 v15, s3, v1, 0x459c4000, v1
	s_delay_alu instid0(VALU_DEP_3) | instskip(SKIP_1) | instid1(VALU_DEP_1)
	v_mul_f32_e32 v17, v12, v9
	v_rcp_f32_e32 v13, v14
	v_dual_mul_f32 v16, v11, v8 :: v_dual_fma_f32 v21, -v6, v17, v12
	s_delay_alu instid0(VALU_DEP_1) | instskip(NEXT) | instid1(TRANS32_DEP_1)
	v_dual_mul_f32 v18, v15, v10 :: v_dual_fma_f32 v20, -v5, v16, v11
	v_fma_f32 v19, -v14, v13, 1.0
	s_delay_alu instid0(VALU_DEP_2) | instskip(NEXT) | instid1(VALU_DEP_2)
	v_dual_fma_f32 v22, -v7, v18, v15 :: v_dual_fmac_f32 v16, v20, v8
	v_fmac_f32_e32 v13, v19, v13
	v_div_scale_f32 v19, s4, v2, 0x459c4000, v2
	s_delay_alu instid0(VALU_DEP_3) | instskip(NEXT) | instid1(VALU_DEP_2)
	v_dual_fmac_f32 v18, v22, v10 :: v_dual_fmac_f32 v17, v21, v9
	v_dual_fma_f32 v5, -v5, v16, v11 :: v_dual_mul_f32 v20, v19, v13
	s_delay_alu instid0(VALU_DEP_2) | instskip(NEXT) | instid1(VALU_DEP_2)
	v_dual_fma_f32 v7, -v7, v18, v15 :: v_dual_fma_f32 v6, -v6, v17, v12
	v_div_fmas_f32 v5, v5, v8, v16
	s_mov_b32 vcc_lo, s2
	s_delay_alu instid0(VALU_DEP_3)
	v_fma_f32 v11, -v14, v20, v19
	s_mov_b32 s2, exec_lo
	v_div_fmas_f32 v6, v6, v9, v17
	s_mov_b32 vcc_lo, s3
	v_div_fixup_f32 v3, v5, 0x459c4000, v3
	v_div_fmas_f32 v7, v7, v10, v18
	s_mov_b32 vcc_lo, s4
	v_div_fixup_f32 v4, v6, 0x459c4000, v4
	s_delay_alu instid0(VALU_DEP_2) | instskip(NEXT) | instid1(VALU_DEP_1)
	v_div_fixup_f32 v1, v7, 0x459c4000, v1
	v_dual_add_f32 v1, v1, v4 :: v_dual_fmac_f32 v20, v11, v13
	s_delay_alu instid0(VALU_DEP_1) | instskip(NEXT) | instid1(VALU_DEP_1)
	v_dual_add_f32 v1, v1, v3 :: v_dual_fma_f32 v8, -v14, v20, v19
	v_div_fmas_f32 v5, v8, v13, v20
	s_delay_alu instid0(VALU_DEP_1) | instskip(NEXT) | instid1(VALU_DEP_1)
	v_div_fixup_f32 v2, v5, 0x459c4000, v2
	v_add_f32_e32 v1, v1, v2
	s_delay_alu instid0(VALU_DEP_1) | instskip(NEXT) | instid1(VALU_DEP_1)
	v_mov_b32_dpp v2, v1 quad_perm:[1,0,3,2] row_mask:0xf bank_mask:0xf
	v_add_f32_e32 v1, v1, v2
	s_delay_alu instid0(VALU_DEP_1) | instskip(NEXT) | instid1(VALU_DEP_1)
	v_mov_b32_dpp v2, v1 quad_perm:[2,3,0,1] row_mask:0xf bank_mask:0xf
	v_add_f32_e32 v1, v1, v2
	s_delay_alu instid0(VALU_DEP_1) | instskip(NEXT) | instid1(VALU_DEP_1)
	v_mov_b32_dpp v2, v1 row_ror:4 row_mask:0xf bank_mask:0xf
	v_add_f32_e32 v1, v1, v2
	s_delay_alu instid0(VALU_DEP_1) | instskip(NEXT) | instid1(VALU_DEP_1)
	v_mov_b32_dpp v2, v1 row_ror:8 row_mask:0xf bank_mask:0xf
	v_add_f32_e32 v1, v1, v2
	ds_swizzle_b32 v2, v1 offset:swizzle(BROADCAST,32,15)
	s_wait_dscnt 0x0
	v_dual_add_f32 v1, v1, v2 :: v_dual_mov_b32 v2, 0
	ds_bpermute_b32 v2, v2, v1 offset:124
	v_mbcnt_lo_u32_b32 v1, -1, 0
	s_delay_alu instid0(VALU_DEP_1)
	v_cmpx_eq_u32_e32 0, v1
	s_cbranch_execz .LBB18_36
; %bb.35:
	v_lshrrev_b32_e32 v3, 3, v0
	s_delay_alu instid0(VALU_DEP_1)
	v_and_b32_e32 v3, 28, v3
	s_wait_dscnt 0x0
	ds_store_b32 v3, v2
.LBB18_36:
	s_or_b32 exec_lo, exec_lo, s2
	s_delay_alu instid0(SALU_CYCLE_1)
	s_mov_b32 s2, exec_lo
	s_wait_dscnt 0x0
	s_barrier_signal -1
	s_barrier_wait -1
	v_cmpx_gt_u32_e32 32, v0
	s_cbranch_execz .LBB18_38
; %bb.37:
	v_and_b32_e32 v2, 7, v1
	s_delay_alu instid0(VALU_DEP_1) | instskip(SKIP_1) | instid1(VALU_DEP_1)
	v_cmp_ne_u32_e32 vcc_lo, 7, v2
	v_add_co_ci_u32_e64 v4, null, 0, v1, vcc_lo
	v_lshlrev_b32_e32 v4, 2, v4
	v_cmp_gt_u32_e32 vcc_lo, 6, v2
	v_lshlrev_b32_e32 v3, 2, v2
	v_cndmask_b32_e64 v2, 0, 2, vcc_lo
	s_delay_alu instid0(VALU_DEP_1)
	v_add_lshl_u32 v2, v2, v1, 2
	v_lshlrev_b32_e32 v1, 2, v1
	ds_load_b32 v3, v3
	v_or_b32_e32 v1, 16, v1
	s_wait_dscnt 0x0
	ds_bpermute_b32 v4, v4, v3
	s_wait_dscnt 0x0
	v_add_f32_e32 v3, v3, v4
	ds_bpermute_b32 v2, v2, v3
	s_wait_dscnt 0x0
	v_add_f32_e32 v2, v3, v2
	;; [unrolled: 3-line block ×3, first 2 shown]
.LBB18_38:
	s_or_b32 exec_lo, exec_lo, s2
	s_branch .LBB18_84
.LBB18_39:
	v_mov_b32_e32 v2, 0
	s_sub_co_i32 s26, s10, s22
	s_mov_b32 s22, exec_lo
	s_delay_alu instid0(VALU_DEP_1)
	v_dual_mov_b32 v1, v2 :: v_dual_mov_b32 v4, v2
	v_mov_b32_e32 v3, v2
	v_cmpx_gt_u32_e64 s26, v0
	s_cbranch_execz .LBB18_49
; %bb.40:
	v_dual_add_nc_u32 v1, s24, v0 :: v_dual_mov_b32 v3, 1
	s_mov_b32 s23, exec_lo
	s_delay_alu instid0(VALU_DEP_1) | instskip(NEXT) | instid1(VALU_DEP_1)
	v_mul_lo_u32 v2, 0x1388, v1
	v_cmpx_ne_u32_e32 0, v2
	s_cbranch_execz .LBB18_46
; %bb.41:
	v_mov_b32_e32 v3, 0
	v_mov_b64_e32 v[6:7], 1
	s_mov_b64 s[20:21], 0xbc8f
	s_mov_b64 s[2:3], 0xfffffffd
	;; [unrolled: 1-line block ×3, first 2 shown]
	v_mov_b64_e32 v[4:5], v[2:3]
	s_mov_b64 s[6:7], 0x80000001
	s_mov_b32 s9, 0
	s_mov_b32 s25, 0
	s_branch .LBB18_43
.LBB18_42:                              ;   in Loop: Header=BB18_43 Depth=1
	s_or_b32 exec_lo, exec_lo, s8
	s_mul_u64 s[20:21], s[20:21], s[20:21]
	s_mov_b32 s29, s9
	s_and_b64 s[30:31], s[20:21], s[2:3]
	s_mov_b32 s8, s21
	s_mul_u64 s[34:35], s[30:31], 3
	s_mul_u64 s[36:37], s[8:9], 3
	s_mov_b32 s28, s35
	s_mul_u64 s[30:31], s[30:31], s[6:7]
	s_add_nc_u64 s[28:29], s[36:37], s[28:29]
	v_lshrrev_b64 v[8:9], 1, v[4:5]
	s_and_b64 s[36:37], s[28:29], s[4:5]
	s_mov_b32 s35, s9
	s_add_nc_u64 s[30:31], s[30:31], s[36:37]
	s_mov_b32 s39, s9
	s_mov_b32 s34, s29
	;; [unrolled: 1-line block ×3, first 2 shown]
	s_mul_u64 s[30:31], s[8:9], s[6:7]
	s_add_nc_u64 s[28:29], s[34:35], s[38:39]
	v_cmp_gt_u64_e32 vcc_lo, 2, v[4:5]
	s_add_nc_u64 s[28:29], s[30:31], s[28:29]
	v_mov_b64_e32 v[4:5], v[8:9]
	s_lshr_b64 s[28:29], s[28:29], 30
	s_delay_alu instid0(SALU_CYCLE_1)
	s_mul_u64 s[28:29], s[28:29], 0x7fffffff
	s_or_b32 s25, vcc_lo, s25
	s_sub_nc_u64 s[20:21], s[20:21], s[28:29]
	s_and_not1_b32 exec_lo, exec_lo, s25
	s_cbranch_execz .LBB18_45
.LBB18_43:                              ; =>This Inner Loop Header: Depth=1
	s_delay_alu instid0(VALU_DEP_1) | instskip(SKIP_1) | instid1(VALU_DEP_1)
	v_and_b32_e32 v1, 1, v4
	s_mov_b32 s8, exec_lo
	v_cmpx_eq_u32_e32 1, v1
	s_cbranch_execz .LBB18_42
; %bb.44:                               ;   in Loop: Header=BB18_43 Depth=1
	v_mul_u64_e32 v[6:7], s[20:21], v[6:7]
	s_delay_alu instid0(VALU_DEP_1) | instskip(NEXT) | instid1(VALU_DEP_1)
	v_mov_b32_e32 v2, v6
	v_mul_u64_e32 v[8:9], 5, v[2:3]
	s_delay_alu instid0(VALU_DEP_1) | instskip(NEXT) | instid1(VALU_DEP_1)
	v_mov_b32_e32 v2, v9
	v_mad_nc_u64_u32 v[8:9], v7, 5, v[2:3]
	s_delay_alu instid0(VALU_DEP_1) | instskip(NEXT) | instid1(VALU_DEP_1)
	v_dual_mov_b32 v2, v9 :: v_dual_mov_b32 v9, v3
	v_mad_nc_u64_u32 v[8:9], v6, 2, v[8:9]
	s_delay_alu instid0(VALU_DEP_1) | instskip(NEXT) | instid1(VALU_DEP_1)
	v_dual_mov_b32 v8, v9 :: v_dual_mov_b32 v9, v3
	v_add_nc_u64_e32 v[8:9], v[2:3], v[8:9]
	s_delay_alu instid0(VALU_DEP_1) | instskip(NEXT) | instid1(VALU_DEP_1)
	v_mad_nc_u64_u32 v[8:9], v7, 2, v[8:9]
	v_sub_nc_u64_e32 v[10:11], v[6:7], v[8:9]
	s_delay_alu instid0(VALU_DEP_1) | instskip(NEXT) | instid1(VALU_DEP_1)
	v_lshrrev_b64 v[10:11], 1, v[10:11]
	v_add_nc_u64_e32 v[8:9], v[10:11], v[8:9]
	s_delay_alu instid0(VALU_DEP_1) | instskip(NEXT) | instid1(VALU_DEP_1)
	v_lshrrev_b64 v[8:9], 30, v[8:9]
	v_mul_u64_e32 v[8:9], 0x7fffffff, v[8:9]
	s_delay_alu instid0(VALU_DEP_1)
	v_sub_nc_u64_e32 v[6:7], v[6:7], v[8:9]
	s_branch .LBB18_42
.LBB18_45:
	s_or_b32 exec_lo, exec_lo, s25
	v_add_min_u32_e64 v1, 0x80000001, v6, v6
	s_delay_alu instid0(VALU_DEP_1)
	v_add_min_u32_e64 v3, 0x80000001, v1, v1
.LBB18_46:
	s_or_b32 exec_lo, exec_lo, s23
	v_mov_b32_e32 v1, 0
	s_movk_i32 s5, 0x1388
	s_brev_b32 s4, 12
.LBB18_47:                              ; =>This Inner Loop Header: Depth=1
	v_mul_hi_u32 v2, 0xbc8f1391, v3
	s_delay_alu instid0(VALU_DEP_1) | instskip(NEXT) | instid1(VALU_DEP_1)
	v_dual_add_f32 v8, 1.0, v1 :: v_dual_lshrrev_b32 v2, 15, v2
	v_mul_u32_u24_e32 v4, 0xadc8, v2
	s_delay_alu instid0(VALU_DEP_1) | instskip(SKIP_1) | instid1(VALU_DEP_2)
	v_sub_nc_u32_e32 v3, v3, v4
	v_mul_u32_u24_e32 v2, 0xd47, v2
	v_mul_lo_u32 v3, 0xbc8f, v3
	s_delay_alu instid0(VALU_DEP_2) | instskip(SKIP_1) | instid1(VALU_DEP_3)
	v_xor_b32_e32 v4, 0x7fffffff, v2
	v_sub_nc_u32_e32 v5, 0, v2
	v_cmp_lt_u32_e32 vcc_lo, v3, v2
	s_delay_alu instid0(VALU_DEP_2) | instskip(NEXT) | instid1(VALU_DEP_1)
	v_cndmask_b32_e32 v2, v5, v4, vcc_lo
	v_add_nc_u32_e32 v2, v2, v3
	s_delay_alu instid0(VALU_DEP_1) | instskip(NEXT) | instid1(VALU_DEP_1)
	v_mul_hi_u32 v3, 0xbc8f1391, v2
	v_lshrrev_b32_e32 v3, 15, v3
	s_delay_alu instid0(VALU_DEP_1) | instskip(SKIP_1) | instid1(VALU_DEP_1)
	v_mul_u32_u24_e32 v4, 0xadc8, v3
	v_mul_u32_u24_e32 v3, 0xd47, v3
	v_dual_sub_nc_u32 v4, v2, v4 :: v_dual_sub_nc_u32 v6, 0, v3
	v_xor_b32_e32 v5, 0x7fffffff, v3
	v_add_nc_u32_e32 v2, -1, v2
	s_delay_alu instid0(VALU_DEP_3) | instskip(NEXT) | instid1(VALU_DEP_1)
	v_mul_lo_u32 v4, 0xbc8f, v4
	v_cmp_lt_u32_e32 vcc_lo, v4, v3
	s_delay_alu instid0(VALU_DEP_4) | instskip(NEXT) | instid1(VALU_DEP_1)
	v_cndmask_b32_e32 v3, v6, v5, vcc_lo
	v_add_nc_u32_e32 v3, v3, v4
	s_delay_alu instid0(VALU_DEP_1) | instskip(NEXT) | instid1(VALU_DEP_1)
	v_mul_hi_u32 v4, 0xbc8f1391, v3
	v_lshrrev_b32_e32 v4, 15, v4
	s_delay_alu instid0(VALU_DEP_1) | instskip(SKIP_1) | instid1(VALU_DEP_1)
	v_mul_u32_u24_e32 v5, 0xadc8, v4
	v_mul_u32_u24_e32 v4, 0xd47, v4
	v_dual_sub_nc_u32 v7, 0, v4 :: v_dual_sub_nc_u32 v5, v3, v5
	v_xor_b32_e32 v6, 0x7fffffff, v4
	v_add_nc_u32_e32 v3, -1, v3
	s_delay_alu instid0(VALU_DEP_3) | instskip(NEXT) | instid1(VALU_DEP_1)
	v_mul_lo_u32 v5, 0xbc8f, v5
	v_cmp_lt_u32_e32 vcc_lo, v5, v4
	s_delay_alu instid0(VALU_DEP_4) | instskip(NEXT) | instid1(VALU_DEP_1)
	v_cndmask_b32_e32 v4, v7, v6, vcc_lo
	v_add_nc_u32_e32 v6, v4, v5
	s_delay_alu instid0(VALU_DEP_1) | instskip(NEXT) | instid1(VALU_DEP_1)
	v_mul_hi_u32 v4, 0xbc8f1391, v6
	v_lshrrev_b32_e32 v4, 15, v4
	s_delay_alu instid0(VALU_DEP_1) | instskip(NEXT) | instid1(VALU_DEP_1)
	v_mul_u32_u24_e32 v5, 0xadc8, v4
	v_sub_nc_u32_e32 v5, v6, v5
	s_delay_alu instid0(VALU_DEP_1) | instskip(SKIP_2) | instid1(VALU_DEP_2)
	v_mul_lo_u32 v7, 0xbc8f, v5
	v_mul_u32_u24_e32 v5, 0xd47, v4
	v_cvt_f32_u32_e32 v4, v2
	v_xor_b32_e32 v2, 0x7fffffff, v5
	v_sub_nc_u32_e32 v9, 0, v5
	v_cmp_lt_u32_e32 vcc_lo, v7, v5
	v_cvt_f32_u32_e32 v5, v3
	s_delay_alu instid0(VALU_DEP_3) | instskip(NEXT) | instid1(VALU_DEP_2)
	v_cndmask_b32_e32 v2, v9, v2, vcc_lo
	v_pk_fma_f32 v[4:5], v[4:5], s[4:5], 0 op_sel_hi:[1,0,0]
	s_delay_alu instid0(VALU_DEP_2) | instskip(NEXT) | instid1(VALU_DEP_2)
	v_dual_add_nc_u32 v3, v2, v7 :: v_dual_add_nc_u32 v2, -1, v6
	v_pk_mul_f32 v[4:5], v[4:5], v[4:5]
	s_delay_alu instid0(VALU_DEP_2) | instskip(NEXT) | instid1(VALU_DEP_3)
	v_add_nc_u32_e32 v7, -1, v3
	v_cvt_f32_u32_e32 v6, v2
	s_delay_alu instid0(VALU_DEP_3) | instskip(NEXT) | instid1(VALU_DEP_3)
	v_add_f32_e32 v2, v4, v5
	v_cvt_f32_u32_e32 v7, v7
	s_delay_alu instid0(VALU_DEP_2) | instskip(NEXT) | instid1(VALU_DEP_2)
	v_cmp_gt_f32_e32 vcc_lo, 0xf800000, v2
	v_pk_fma_f32 v[4:5], v[6:7], s[4:5], 0 op_sel_hi:[1,0,0]
	v_mul_f32_e32 v6, 0x4f800000, v2
	s_add_co_i32 s5, s5, -2
	s_delay_alu instid0(SALU_CYCLE_1) | instskip(NEXT) | instid1(VALU_DEP_2)
	s_cmp_lg_u32 s5, 0
	v_pk_mul_f32 v[4:5], v[4:5], v[4:5]
	s_delay_alu instid0(VALU_DEP_1) | instskip(NEXT) | instid1(VALU_DEP_1)
	v_add_f32_e32 v4, v4, v5
	v_cmp_gt_f32_e64 s2, 0xf800000, v4
	v_cndmask_b32_e32 v2, v2, v6, vcc_lo
	v_mul_f32_e32 v6, 0x4f800000, v4
	s_delay_alu instid0(VALU_DEP_1) | instskip(NEXT) | instid1(VALU_DEP_3)
	v_cndmask_b32_e64 v4, v4, v6, s2
	v_sqrt_f32_e32 v5, v2
	s_delay_alu instid0(VALU_DEP_1) | instskip(NEXT) | instid1(TRANS32_DEP_2)
	v_sqrt_f32_e32 v10, v4
	v_dual_add_nc_u32 v7, -1, v5 :: v_dual_add_nc_u32 v6, 1, v5
	s_delay_alu instid0(VALU_DEP_1) | instskip(NEXT) | instid1(VALU_DEP_1)
	v_fma_f32 v9, -v7, v5, v2
	v_cmp_ge_f32_e64 s3, 0, v9
	s_delay_alu instid0(VALU_DEP_1) | instskip(NEXT) | instid1(VALU_DEP_1)
	v_dual_fma_f32 v11, -v6, v5, v2 :: v_dual_cndmask_b32 v5, v5, v7, s3
	v_cmp_lt_f32_e64 s3, 0, v11
	s_delay_alu instid0(TRANS32_DEP_1) | instskip(NEXT) | instid1(VALU_DEP_2)
	v_add_nc_u32_e32 v7, -1, v10
	v_cndmask_b32_e64 v5, v5, v6, s3
	s_delay_alu instid0(VALU_DEP_2) | instskip(NEXT) | instid1(VALU_DEP_1)
	v_dual_add_nc_u32 v6, 1, v10 :: v_dual_fma_f32 v9, -v7, v10, v4
	v_cmp_ge_f32_e64 s3, 0, v9
	s_delay_alu instid0(VALU_DEP_1) | instskip(NEXT) | instid1(VALU_DEP_4)
	v_cndmask_b32_e64 v7, v10, v7, s3
	v_mul_f32_e32 v11, 0x37800000, v5
	s_delay_alu instid0(VALU_DEP_1) | instskip(SKIP_1) | instid1(VALU_DEP_2)
	v_cndmask_b32_e32 v5, v5, v11, vcc_lo
	v_cmp_class_f32_e64 vcc_lo, v2, 0x260
	v_cndmask_b32_e32 v2, v5, v2, vcc_lo
	s_delay_alu instid0(VALU_DEP_1) | instskip(NEXT) | instid1(VALU_DEP_3)
	v_cmp_nge_f32_e32 vcc_lo, 1.0, v2
	v_dual_fma_f32 v12, -v6, v10, v4 :: v_dual_cndmask_b32 v1, v8, v1, vcc_lo
	s_delay_alu instid0(VALU_DEP_1) | instskip(SKIP_1) | instid1(VALU_DEP_2)
	v_cmp_lt_f32_e64 s3, 0, v12
	v_cmp_class_f32_e64 vcc_lo, v4, 0x260
	v_cndmask_b32_e64 v6, v7, v6, s3
	s_delay_alu instid0(VALU_DEP_1) | instskip(NEXT) | instid1(VALU_DEP_1)
	v_mul_f32_e32 v5, 0x37800000, v6
	v_cndmask_b32_e64 v2, v6, v5, s2
	s_delay_alu instid0(VALU_DEP_1) | instskip(NEXT) | instid1(VALU_DEP_1)
	v_dual_add_f32 v5, 1.0, v1 :: v_dual_cndmask_b32 v2, v2, v4
	v_cmp_nge_f32_e32 vcc_lo, 1.0, v2
	s_delay_alu instid0(VALU_DEP_2)
	v_cndmask_b32_e32 v1, v5, v1, vcc_lo
	s_cbranch_scc1 .LBB18_47
; %bb.48:
	s_delay_alu instid0(VALU_DEP_1) | instskip(NEXT) | instid1(VALU_DEP_1)
	v_mul_f32_e32 v2, 4.0, v1
	v_div_scale_f32 v1, null, 0x459c4000, 0x459c4000, v2
	s_delay_alu instid0(VALU_DEP_1) | instskip(SKIP_1) | instid1(TRANS32_DEP_1)
	v_rcp_f32_e32 v3, v1
	v_nop
	v_fma_f32 v4, -v1, v3, 1.0
	s_delay_alu instid0(VALU_DEP_1) | instskip(SKIP_1) | instid1(VALU_DEP_1)
	v_fmac_f32_e32 v3, v4, v3
	v_div_scale_f32 v5, vcc_lo, v2, 0x459c4000, v2
	v_mul_f32_e32 v4, v5, v3
	s_delay_alu instid0(VALU_DEP_1) | instskip(NEXT) | instid1(VALU_DEP_1)
	v_fma_f32 v6, -v1, v4, v5
	v_fmac_f32_e32 v4, v6, v3
	s_delay_alu instid0(VALU_DEP_1) | instskip(NEXT) | instid1(VALU_DEP_1)
	v_dual_fma_f32 v5, -v1, v4, v5 :: v_dual_mov_b32 v1, 0
	v_div_fmas_f32 v3, v5, v3, v4
	s_delay_alu instid0(VALU_DEP_2) | instskip(NEXT) | instid1(VALU_DEP_2)
	v_mov_b32_e32 v4, v1
	v_div_fixup_f32 v2, v3, 0x459c4000, v2
	v_mov_b32_e32 v3, v1
.LBB18_49:
	s_or_b32 exec_lo, exec_lo, s22
	v_or_b32_e32 v5, 0x100, v0
	s_delay_alu instid0(VALU_DEP_1)
	v_cmp_gt_u32_e64 s2, s26, v5
	s_and_saveexec_b32 s25, s2
	s_cbranch_execz .LBB18_59
; %bb.50:
	v_dual_add_nc_u32 v1, s24, v5 :: v_dual_mov_b32 v5, 1
	s_mov_b32 s5, 0
	s_mov_b32 s3, exec_lo
	s_delay_alu instid0(VALU_DEP_1) | instskip(NEXT) | instid1(VALU_DEP_1)
	v_mul_lo_u32 v6, 0x1388, v1
	v_cmpx_ne_u32_e32 0, v6
	s_cbranch_execz .LBB18_56
; %bb.51:
	v_mov_b32_e32 v7, 0
	v_mov_b64_e32 v[10:11], 1
	s_mov_b64 s[22:23], 0xbc8f
	s_mov_b64 s[6:7], 0xfffffffd
	s_mov_b64 s[8:9], 0xffffffff
	v_mov_b64_e32 v[8:9], v[6:7]
	s_mov_b64 s[20:21], 0x80000001
	s_mov_b32 s27, 0
	s_branch .LBB18_53
.LBB18_52:                              ;   in Loop: Header=BB18_53 Depth=1
	s_or_b32 exec_lo, exec_lo, s4
	s_mul_u64 s[22:23], s[22:23], s[22:23]
	s_mov_b32 s29, s5
	s_and_b64 s[30:31], s[22:23], s[6:7]
	s_mov_b32 s4, s23
	s_mul_u64 s[34:35], s[30:31], 3
	s_mul_u64 s[36:37], s[4:5], 3
	s_mov_b32 s28, s35
	s_mul_u64 s[30:31], s[30:31], s[20:21]
	s_add_nc_u64 s[28:29], s[36:37], s[28:29]
	v_lshrrev_b64 v[12:13], 1, v[8:9]
	s_and_b64 s[36:37], s[28:29], s[8:9]
	s_mov_b32 s35, s5
	s_add_nc_u64 s[30:31], s[30:31], s[36:37]
	s_mov_b32 s39, s5
	s_mov_b32 s34, s29
	;; [unrolled: 1-line block ×3, first 2 shown]
	s_mul_u64 s[30:31], s[4:5], s[20:21]
	s_add_nc_u64 s[28:29], s[34:35], s[38:39]
	v_cmp_gt_u64_e32 vcc_lo, 2, v[8:9]
	s_add_nc_u64 s[28:29], s[30:31], s[28:29]
	v_mov_b64_e32 v[8:9], v[12:13]
	s_lshr_b64 s[28:29], s[28:29], 30
	s_delay_alu instid0(SALU_CYCLE_1)
	s_mul_u64 s[28:29], s[28:29], 0x7fffffff
	s_or_b32 s27, vcc_lo, s27
	s_sub_nc_u64 s[22:23], s[22:23], s[28:29]
	s_and_not1_b32 exec_lo, exec_lo, s27
	s_cbranch_execz .LBB18_55
.LBB18_53:                              ; =>This Inner Loop Header: Depth=1
	s_delay_alu instid0(VALU_DEP_1) | instskip(SKIP_1) | instid1(VALU_DEP_1)
	v_and_b32_e32 v1, 1, v8
	s_mov_b32 s4, exec_lo
	v_cmpx_eq_u32_e32 1, v1
	s_cbranch_execz .LBB18_52
; %bb.54:                               ;   in Loop: Header=BB18_53 Depth=1
	v_mul_u64_e32 v[10:11], s[22:23], v[10:11]
	s_delay_alu instid0(VALU_DEP_1) | instskip(NEXT) | instid1(VALU_DEP_1)
	v_mov_b32_e32 v6, v10
	v_mul_u64_e32 v[12:13], 5, v[6:7]
	s_delay_alu instid0(VALU_DEP_1) | instskip(NEXT) | instid1(VALU_DEP_1)
	v_mov_b32_e32 v6, v13
	v_mad_nc_u64_u32 v[12:13], v11, 5, v[6:7]
	s_delay_alu instid0(VALU_DEP_1) | instskip(NEXT) | instid1(VALU_DEP_1)
	v_dual_mov_b32 v6, v13 :: v_dual_mov_b32 v13, v7
	v_mad_nc_u64_u32 v[12:13], v10, 2, v[12:13]
	s_delay_alu instid0(VALU_DEP_1) | instskip(NEXT) | instid1(VALU_DEP_1)
	v_dual_mov_b32 v12, v13 :: v_dual_mov_b32 v13, v7
	v_add_nc_u64_e32 v[12:13], v[6:7], v[12:13]
	s_delay_alu instid0(VALU_DEP_1) | instskip(NEXT) | instid1(VALU_DEP_1)
	v_mad_nc_u64_u32 v[12:13], v11, 2, v[12:13]
	v_sub_nc_u64_e32 v[14:15], v[10:11], v[12:13]
	s_delay_alu instid0(VALU_DEP_1) | instskip(NEXT) | instid1(VALU_DEP_1)
	v_lshrrev_b64 v[14:15], 1, v[14:15]
	v_add_nc_u64_e32 v[12:13], v[14:15], v[12:13]
	s_delay_alu instid0(VALU_DEP_1) | instskip(NEXT) | instid1(VALU_DEP_1)
	v_lshrrev_b64 v[12:13], 30, v[12:13]
	v_mul_u64_e32 v[12:13], 0x7fffffff, v[12:13]
	s_delay_alu instid0(VALU_DEP_1)
	v_sub_nc_u64_e32 v[10:11], v[10:11], v[12:13]
	s_branch .LBB18_52
.LBB18_55:
	s_or_b32 exec_lo, exec_lo, s27
	v_add_min_u32_e64 v1, 0x80000001, v10, v10
	s_delay_alu instid0(VALU_DEP_1)
	v_add_min_u32_e64 v5, 0x80000001, v1, v1
.LBB18_56:
	s_or_b32 exec_lo, exec_lo, s3
	v_mov_b32_e32 v1, 0
	s_movk_i32 s5, 0x1388
	s_brev_b32 s6, 12
.LBB18_57:                              ; =>This Inner Loop Header: Depth=1
	v_mul_hi_u32 v6, 0xbc8f1391, v5
	s_add_co_i32 s5, s5, -2
	s_delay_alu instid0(SALU_CYCLE_1) | instskip(NEXT) | instid1(VALU_DEP_1)
	s_cmp_lg_u32 s5, 0
	v_lshrrev_b32_e32 v6, 15, v6
	s_delay_alu instid0(VALU_DEP_1) | instskip(NEXT) | instid1(VALU_DEP_1)
	v_mul_u32_u24_e32 v7, 0xadc8, v6
	v_sub_nc_u32_e32 v5, v5, v7
	v_mul_u32_u24_e32 v6, 0xd47, v6
	s_delay_alu instid0(VALU_DEP_2) | instskip(NEXT) | instid1(VALU_DEP_2)
	v_mul_lo_u32 v5, 0xbc8f, v5
	v_xor_b32_e32 v7, 0x7fffffff, v6
	v_sub_nc_u32_e32 v8, 0, v6
	s_delay_alu instid0(VALU_DEP_3) | instskip(NEXT) | instid1(VALU_DEP_2)
	v_cmp_lt_u32_e32 vcc_lo, v5, v6
	v_cndmask_b32_e32 v6, v8, v7, vcc_lo
	s_delay_alu instid0(VALU_DEP_1) | instskip(NEXT) | instid1(VALU_DEP_1)
	v_add_nc_u32_e32 v5, v6, v5
	v_mul_hi_u32 v6, 0xbc8f1391, v5
	s_delay_alu instid0(VALU_DEP_1) | instskip(NEXT) | instid1(VALU_DEP_1)
	v_lshrrev_b32_e32 v6, 15, v6
	v_mul_u32_u24_e32 v7, 0xadc8, v6
	v_mul_u32_u24_e32 v6, 0xd47, v6
	s_delay_alu instid0(VALU_DEP_2) | instskip(NEXT) | instid1(VALU_DEP_2)
	v_sub_nc_u32_e32 v7, v5, v7
	v_xor_b32_e32 v8, 0x7fffffff, v6
	v_add_nc_u32_e32 v5, -1, v5
	s_delay_alu instid0(VALU_DEP_3) | instskip(SKIP_1) | instid1(VALU_DEP_2)
	v_mul_lo_u32 v7, 0xbc8f, v7
	v_sub_nc_u32_e32 v9, 0, v6
	v_cmp_lt_u32_e32 vcc_lo, v7, v6
	s_delay_alu instid0(VALU_DEP_2) | instskip(NEXT) | instid1(VALU_DEP_1)
	v_cndmask_b32_e32 v6, v9, v8, vcc_lo
	v_add_nc_u32_e32 v7, v6, v7
	s_delay_alu instid0(VALU_DEP_1) | instskip(NEXT) | instid1(VALU_DEP_1)
	v_mul_hi_u32 v6, 0xbc8f1391, v7
	v_lshrrev_b32_e32 v6, 15, v6
	s_delay_alu instid0(VALU_DEP_1) | instskip(SKIP_1) | instid1(VALU_DEP_2)
	v_mul_u32_u24_e32 v8, 0xadc8, v6
	v_mul_u32_u24_e32 v6, 0xd47, v6
	v_sub_nc_u32_e32 v8, v7, v8
	s_delay_alu instid0(VALU_DEP_2) | instskip(NEXT) | instid1(VALU_DEP_2)
	v_xor_b32_e32 v9, 0x7fffffff, v6
	v_mul_lo_u32 v8, 0xbc8f, v8
	v_sub_nc_u32_e32 v10, 0, v6
	s_delay_alu instid0(VALU_DEP_2) | instskip(NEXT) | instid1(VALU_DEP_2)
	v_cmp_lt_u32_e32 vcc_lo, v8, v6
	v_cndmask_b32_e32 v6, v10, v9, vcc_lo
	s_delay_alu instid0(VALU_DEP_1) | instskip(NEXT) | instid1(VALU_DEP_1)
	v_dual_add_f32 v10, 1.0, v1 :: v_dual_add_nc_u32 v8, v6, v8
	v_mul_hi_u32 v6, 0xbc8f1391, v8
	s_delay_alu instid0(VALU_DEP_1) | instskip(NEXT) | instid1(VALU_DEP_1)
	v_lshrrev_b32_e32 v6, 15, v6
	v_mul_u32_u24_e32 v9, 0xadc8, v6
	v_mul_u32_u24_e32 v11, 0xd47, v6
	v_cvt_f32_u32_e32 v6, v5
	s_delay_alu instid0(VALU_DEP_3) | instskip(NEXT) | instid1(VALU_DEP_3)
	v_sub_nc_u32_e32 v9, v8, v9
	v_xor_b32_e32 v5, 0x7fffffff, v11
	v_dual_sub_nc_u32 v12, 0, v11 :: v_dual_add_nc_u32 v8, -1, v8
	s_delay_alu instid0(VALU_DEP_3) | instskip(NEXT) | instid1(VALU_DEP_2)
	v_mul_lo_u32 v9, 0xbc8f, v9
	v_cvt_f32_u32_e32 v8, v8
	s_delay_alu instid0(VALU_DEP_2) | instskip(NEXT) | instid1(VALU_DEP_4)
	v_cmp_lt_u32_e32 vcc_lo, v9, v11
	v_dual_add_nc_u32 v7, -1, v7 :: v_dual_cndmask_b32 v5, v12, v5, vcc_lo
	s_delay_alu instid0(VALU_DEP_1) | instskip(NEXT) | instid1(VALU_DEP_2)
	v_cvt_f32_u32_e32 v7, v7
	v_add_nc_u32_e32 v5, v5, v9
	s_delay_alu instid0(VALU_DEP_2) | instskip(NEXT) | instid1(VALU_DEP_1)
	v_pk_fma_f32 v[6:7], v[6:7], s[6:7], 0 op_sel_hi:[1,0,0]
	v_pk_mul_f32 v[6:7], v[6:7], v[6:7]
	s_delay_alu instid0(VALU_DEP_1) | instskip(NEXT) | instid1(VALU_DEP_1)
	v_dual_add_nc_u32 v9, -1, v5 :: v_dual_add_f32 v11, v6, v7
	v_cvt_f32_u32_e32 v9, v9
	s_delay_alu instid0(VALU_DEP_2) | instskip(NEXT) | instid1(VALU_DEP_2)
	v_cmp_gt_f32_e32 vcc_lo, 0xf800000, v11
	v_pk_fma_f32 v[6:7], v[8:9], s[6:7], 0 op_sel_hi:[1,0,0]
	s_delay_alu instid0(VALU_DEP_1) | instskip(NEXT) | instid1(VALU_DEP_1)
	v_pk_mul_f32 v[6:7], v[6:7], v[6:7]
	v_add_f32_e32 v6, v6, v7
	s_delay_alu instid0(VALU_DEP_1) | instskip(NEXT) | instid1(VALU_DEP_1)
	v_dual_mul_f32 v8, 0x4f800000, v11 :: v_dual_mul_f32 v9, 0x4f800000, v6
	v_cndmask_b32_e32 v8, v11, v8, vcc_lo
	v_cmp_gt_f32_e64 s3, 0xf800000, v6
	s_delay_alu instid0(VALU_DEP_2) | instskip(SKIP_1) | instid1(TRANS32_DEP_1)
	v_sqrt_f32_e32 v7, v8
	v_nop
	v_dual_add_nc_u32 v11, -1, v7 :: v_dual_cndmask_b32 v6, v6, v9, s3
	s_delay_alu instid0(VALU_DEP_1) | instskip(NEXT) | instid1(VALU_DEP_2)
	v_dual_add_nc_u32 v9, 1, v7 :: v_dual_fma_f32 v12, -v11, v7, v8
	v_sqrt_f32_e32 v13, v6
	s_delay_alu instid0(VALU_DEP_1) | instskip(NEXT) | instid1(VALU_DEP_2)
	v_fma_f32 v14, -v9, v7, v8
	v_cmp_ge_f32_e64 s4, 0, v12
	s_delay_alu instid0(TRANS32_DEP_1) | instid1(VALU_DEP_1)
	v_dual_cndmask_b32 v7, v7, v11, s4 :: v_dual_add_nc_u32 v11, -1, v13
	s_delay_alu instid0(VALU_DEP_3) | instskip(NEXT) | instid1(VALU_DEP_1)
	v_cmp_lt_f32_e64 s4, 0, v14
	v_cndmask_b32_e64 v7, v7, v9, s4
	s_delay_alu instid0(VALU_DEP_3) | instskip(NEXT) | instid1(VALU_DEP_1)
	v_dual_add_nc_u32 v9, 1, v13 :: v_dual_fma_f32 v12, -v11, v13, v6
	v_fma_f32 v15, -v9, v13, v6
	s_delay_alu instid0(VALU_DEP_2) | instskip(NEXT) | instid1(VALU_DEP_1)
	v_cmp_ge_f32_e64 s4, 0, v12
	v_cndmask_b32_e64 v11, v13, v11, s4
	v_mul_f32_e32 v14, 0x37800000, v7
	s_delay_alu instid0(VALU_DEP_4) | instskip(NEXT) | instid1(VALU_DEP_1)
	v_cmp_lt_f32_e64 s4, 0, v15
	v_cndmask_b32_e64 v9, v11, v9, s4
	s_delay_alu instid0(VALU_DEP_3) | instskip(SKIP_1) | instid1(VALU_DEP_2)
	v_cndmask_b32_e32 v7, v7, v14, vcc_lo
	v_cmp_class_f32_e64 vcc_lo, v8, 0x260
	v_dual_cndmask_b32 v7, v7, v8 :: v_dual_mul_f32 v8, 0x37800000, v9
	s_delay_alu instid0(VALU_DEP_1) | instskip(NEXT) | instid1(VALU_DEP_2)
	v_cmp_nge_f32_e32 vcc_lo, 1.0, v7
	v_dual_cndmask_b32 v7, v9, v8, s3 :: v_dual_cndmask_b32 v1, v10, v1, vcc_lo
	v_cmp_class_f32_e64 vcc_lo, v6, 0x260
	s_delay_alu instid0(VALU_DEP_1) | instskip(NEXT) | instid1(VALU_DEP_1)
	v_dual_add_f32 v8, 1.0, v1 :: v_dual_cndmask_b32 v6, v7, v6, vcc_lo
	v_cmp_nge_f32_e32 vcc_lo, 1.0, v6
	s_delay_alu instid0(VALU_DEP_2)
	v_cndmask_b32_e32 v1, v8, v1, vcc_lo
	s_cbranch_scc1 .LBB18_57
; %bb.58:
	s_delay_alu instid0(VALU_DEP_1) | instskip(NEXT) | instid1(VALU_DEP_1)
	v_mul_f32_e32 v1, 4.0, v1
	v_div_scale_f32 v5, null, 0x459c4000, 0x459c4000, v1
	s_delay_alu instid0(VALU_DEP_1) | instskip(SKIP_1) | instid1(TRANS32_DEP_1)
	v_rcp_f32_e32 v6, v5
	v_nop
	v_fma_f32 v7, -v5, v6, 1.0
	s_delay_alu instid0(VALU_DEP_1) | instskip(SKIP_1) | instid1(VALU_DEP_1)
	v_fmac_f32_e32 v6, v7, v6
	v_div_scale_f32 v7, vcc_lo, v1, 0x459c4000, v1
	v_mul_f32_e32 v8, v7, v6
	s_delay_alu instid0(VALU_DEP_1) | instskip(NEXT) | instid1(VALU_DEP_1)
	v_fma_f32 v9, -v5, v8, v7
	v_fmac_f32_e32 v8, v9, v6
	s_delay_alu instid0(VALU_DEP_1) | instskip(NEXT) | instid1(VALU_DEP_1)
	v_fma_f32 v5, -v5, v8, v7
	v_div_fmas_f32 v5, v5, v6, v8
	s_delay_alu instid0(VALU_DEP_1)
	v_div_fixup_f32 v1, v5, 0x459c4000, v1
.LBB18_59:
	s_or_b32 exec_lo, exec_lo, s25
	v_or_b32_e32 v5, 0x200, v0
	s_delay_alu instid0(VALU_DEP_1)
	v_cmp_gt_u32_e64 s3, s26, v5
	s_and_saveexec_b32 s25, s3
	s_cbranch_execz .LBB18_69
; %bb.60:
	v_dual_mov_b32 v5, 1 :: v_dual_add_nc_u32 v4, s24, v5
	s_mov_b32 s5, 0
	s_mov_b32 s27, exec_lo
	s_delay_alu instid0(VALU_DEP_1) | instskip(NEXT) | instid1(VALU_DEP_1)
	v_mul_lo_u32 v4, 0x1388, v4
	v_cmpx_ne_u32_e32 0, v4
	s_cbranch_execz .LBB18_66
; %bb.61:
	v_mov_b32_e32 v5, 0
	v_mov_b64_e32 v[8:9], 1
	s_mov_b64 s[22:23], 0xbc8f
	s_mov_b64 s[6:7], 0xfffffffd
	;; [unrolled: 1-line block ×3, first 2 shown]
	v_mov_b64_e32 v[6:7], v[4:5]
	s_mov_b64 s[20:21], 0x80000001
	s_mov_b32 s28, 0
	s_branch .LBB18_63
.LBB18_62:                              ;   in Loop: Header=BB18_63 Depth=1
	s_or_b32 exec_lo, exec_lo, s4
	s_mul_u64 s[22:23], s[22:23], s[22:23]
	s_mov_b32 s31, s5
	s_and_b64 s[34:35], s[22:23], s[6:7]
	s_mov_b32 s4, s23
	s_mul_u64 s[36:37], s[34:35], 3
	s_mul_u64 s[38:39], s[4:5], 3
	s_mov_b32 s30, s37
	s_mul_u64 s[34:35], s[34:35], s[20:21]
	s_add_nc_u64 s[30:31], s[38:39], s[30:31]
	v_lshrrev_b64 v[10:11], 1, v[6:7]
	s_and_b64 s[38:39], s[30:31], s[8:9]
	s_mov_b32 s37, s5
	s_add_nc_u64 s[34:35], s[34:35], s[38:39]
	s_mov_b32 s41, s5
	s_mov_b32 s36, s31
	s_mov_b32 s40, s35
	s_mul_u64 s[34:35], s[4:5], s[20:21]
	s_add_nc_u64 s[30:31], s[36:37], s[40:41]
	v_cmp_gt_u64_e32 vcc_lo, 2, v[6:7]
	s_add_nc_u64 s[30:31], s[34:35], s[30:31]
	v_mov_b64_e32 v[6:7], v[10:11]
	s_lshr_b64 s[30:31], s[30:31], 30
	s_delay_alu instid0(SALU_CYCLE_1)
	s_mul_u64 s[30:31], s[30:31], 0x7fffffff
	s_or_b32 s28, vcc_lo, s28
	s_sub_nc_u64 s[22:23], s[22:23], s[30:31]
	s_and_not1_b32 exec_lo, exec_lo, s28
	s_cbranch_execz .LBB18_65
.LBB18_63:                              ; =>This Inner Loop Header: Depth=1
	s_delay_alu instid0(VALU_DEP_1) | instskip(SKIP_1) | instid1(VALU_DEP_1)
	v_and_b32_e32 v4, 1, v6
	s_mov_b32 s4, exec_lo
	v_cmpx_eq_u32_e32 1, v4
	s_cbranch_execz .LBB18_62
; %bb.64:                               ;   in Loop: Header=BB18_63 Depth=1
	v_mul_u64_e32 v[8:9], s[22:23], v[8:9]
	s_delay_alu instid0(VALU_DEP_1) | instskip(NEXT) | instid1(VALU_DEP_1)
	v_mov_b32_e32 v4, v8
	v_mul_u64_e32 v[10:11], 5, v[4:5]
	s_delay_alu instid0(VALU_DEP_1) | instskip(NEXT) | instid1(VALU_DEP_1)
	v_mov_b32_e32 v4, v11
	v_mad_nc_u64_u32 v[10:11], v9, 5, v[4:5]
	s_delay_alu instid0(VALU_DEP_1) | instskip(NEXT) | instid1(VALU_DEP_1)
	v_dual_mov_b32 v4, v11 :: v_dual_mov_b32 v11, v5
	v_mad_nc_u64_u32 v[10:11], v8, 2, v[10:11]
	s_delay_alu instid0(VALU_DEP_1) | instskip(NEXT) | instid1(VALU_DEP_1)
	v_dual_mov_b32 v10, v11 :: v_dual_mov_b32 v11, v5
	v_add_nc_u64_e32 v[10:11], v[4:5], v[10:11]
	s_delay_alu instid0(VALU_DEP_1) | instskip(NEXT) | instid1(VALU_DEP_1)
	v_mad_nc_u64_u32 v[10:11], v9, 2, v[10:11]
	v_sub_nc_u64_e32 v[12:13], v[8:9], v[10:11]
	s_delay_alu instid0(VALU_DEP_1) | instskip(NEXT) | instid1(VALU_DEP_1)
	v_lshrrev_b64 v[12:13], 1, v[12:13]
	v_add_nc_u64_e32 v[10:11], v[12:13], v[10:11]
	s_delay_alu instid0(VALU_DEP_1) | instskip(NEXT) | instid1(VALU_DEP_1)
	v_lshrrev_b64 v[10:11], 30, v[10:11]
	v_mul_u64_e32 v[10:11], 0x7fffffff, v[10:11]
	s_delay_alu instid0(VALU_DEP_1)
	v_sub_nc_u64_e32 v[8:9], v[8:9], v[10:11]
	s_branch .LBB18_62
.LBB18_65:
	s_or_b32 exec_lo, exec_lo, s28
	v_add_min_u32_e64 v4, 0x80000001, v8, v8
	s_delay_alu instid0(VALU_DEP_1)
	v_add_min_u32_e64 v5, 0x80000001, v4, v4
.LBB18_66:
	s_or_b32 exec_lo, exec_lo, s27
	v_mov_b32_e32 v4, 0
	s_movk_i32 s7, 0x1388
	s_brev_b32 s6, 12
.LBB18_67:                              ; =>This Inner Loop Header: Depth=1
	v_mul_hi_u32 v6, 0xbc8f1391, v5
	s_delay_alu instid0(VALU_DEP_1) | instskip(NEXT) | instid1(VALU_DEP_1)
	v_lshrrev_b32_e32 v6, 15, v6
	v_mul_u32_u24_e32 v7, 0xadc8, v6
	s_delay_alu instid0(VALU_DEP_1) | instskip(SKIP_1) | instid1(VALU_DEP_2)
	v_sub_nc_u32_e32 v5, v5, v7
	v_mul_u32_u24_e32 v6, 0xd47, v6
	v_mul_lo_u32 v5, 0xbc8f, v5
	s_delay_alu instid0(VALU_DEP_2) | instskip(SKIP_1) | instid1(VALU_DEP_3)
	v_xor_b32_e32 v7, 0x7fffffff, v6
	v_sub_nc_u32_e32 v8, 0, v6
	v_cmp_lt_u32_e32 vcc_lo, v5, v6
	s_delay_alu instid0(VALU_DEP_2) | instskip(NEXT) | instid1(VALU_DEP_1)
	v_cndmask_b32_e32 v6, v8, v7, vcc_lo
	v_add_nc_u32_e32 v5, v6, v5
	s_delay_alu instid0(VALU_DEP_1) | instskip(NEXT) | instid1(VALU_DEP_1)
	v_mul_hi_u32 v6, 0xbc8f1391, v5
	v_lshrrev_b32_e32 v6, 15, v6
	s_delay_alu instid0(VALU_DEP_1) | instskip(SKIP_1) | instid1(VALU_DEP_2)
	v_mul_u32_u24_e32 v7, 0xadc8, v6
	v_mul_u32_u24_e32 v6, 0xd47, v6
	v_sub_nc_u32_e32 v7, v5, v7
	s_delay_alu instid0(VALU_DEP_2) | instskip(SKIP_1) | instid1(VALU_DEP_3)
	v_xor_b32_e32 v8, 0x7fffffff, v6
	v_add_nc_u32_e32 v5, -1, v5
	v_mul_lo_u32 v7, 0xbc8f, v7
	v_sub_nc_u32_e32 v9, 0, v6
	s_delay_alu instid0(VALU_DEP_2) | instskip(NEXT) | instid1(VALU_DEP_2)
	v_cmp_lt_u32_e32 vcc_lo, v7, v6
	v_cndmask_b32_e32 v6, v9, v8, vcc_lo
	s_delay_alu instid0(VALU_DEP_1) | instskip(NEXT) | instid1(VALU_DEP_1)
	v_add_nc_u32_e32 v7, v6, v7
	v_mul_hi_u32 v6, 0xbc8f1391, v7
	s_delay_alu instid0(VALU_DEP_1) | instskip(NEXT) | instid1(VALU_DEP_1)
	v_lshrrev_b32_e32 v6, 15, v6
	v_mul_u32_u24_e32 v8, 0xadc8, v6
	v_mul_u32_u24_e32 v6, 0xd47, v6
	s_delay_alu instid0(VALU_DEP_2) | instskip(NEXT) | instid1(VALU_DEP_2)
	v_sub_nc_u32_e32 v8, v7, v8
	v_xor_b32_e32 v9, 0x7fffffff, v6
	s_delay_alu instid0(VALU_DEP_2) | instskip(SKIP_1) | instid1(VALU_DEP_2)
	v_mul_lo_u32 v8, 0xbc8f, v8
	v_sub_nc_u32_e32 v10, 0, v6
	v_cmp_lt_u32_e32 vcc_lo, v8, v6
	s_delay_alu instid0(VALU_DEP_2) | instskip(NEXT) | instid1(VALU_DEP_1)
	v_dual_cndmask_b32 v6, v10, v9, vcc_lo :: v_dual_add_f32 v10, 1.0, v4
	v_add_nc_u32_e32 v8, v6, v8
	s_delay_alu instid0(VALU_DEP_1) | instskip(NEXT) | instid1(VALU_DEP_1)
	v_mul_hi_u32 v6, 0xbc8f1391, v8
	v_lshrrev_b32_e32 v6, 15, v6
	s_delay_alu instid0(VALU_DEP_1) | instskip(SKIP_2) | instid1(VALU_DEP_3)
	v_mul_u32_u24_e32 v9, 0xadc8, v6
	v_mul_u32_u24_e32 v11, 0xd47, v6
	v_cvt_f32_u32_e32 v6, v5
	v_sub_nc_u32_e32 v9, v8, v9
	s_delay_alu instid0(VALU_DEP_3) | instskip(SKIP_1) | instid1(VALU_DEP_3)
	v_xor_b32_e32 v5, 0x7fffffff, v11
	v_dual_sub_nc_u32 v12, 0, v11 :: v_dual_add_nc_u32 v8, -1, v8
	v_mul_lo_u32 v9, 0xbc8f, v9
	s_delay_alu instid0(VALU_DEP_2) | instskip(NEXT) | instid1(VALU_DEP_2)
	v_cvt_f32_u32_e32 v8, v8
	v_cmp_lt_u32_e32 vcc_lo, v9, v11
	s_delay_alu instid0(VALU_DEP_4) | instskip(NEXT) | instid1(VALU_DEP_1)
	v_dual_add_nc_u32 v7, -1, v7 :: v_dual_cndmask_b32 v5, v12, v5, vcc_lo
	v_cvt_f32_u32_e32 v7, v7
	s_delay_alu instid0(VALU_DEP_2) | instskip(NEXT) | instid1(VALU_DEP_2)
	v_add_nc_u32_e32 v5, v5, v9
	v_pk_fma_f32 v[6:7], v[6:7], s[6:7], 0 op_sel_hi:[1,0,0]
	s_delay_alu instid0(VALU_DEP_1) | instskip(NEXT) | instid1(VALU_DEP_1)
	v_pk_mul_f32 v[6:7], v[6:7], v[6:7]
	v_dual_add_nc_u32 v9, -1, v5 :: v_dual_add_f32 v11, v6, v7
	s_delay_alu instid0(VALU_DEP_1) | instskip(NEXT) | instid1(VALU_DEP_2)
	v_cvt_f32_u32_e32 v9, v9
	v_cmp_gt_f32_e32 vcc_lo, 0xf800000, v11
	s_delay_alu instid0(VALU_DEP_2) | instskip(SKIP_1) | instid1(SALU_CYCLE_1)
	v_pk_fma_f32 v[6:7], v[8:9], s[6:7], 0 op_sel_hi:[1,0,0]
	s_add_co_i32 s7, s7, -2
	s_cmp_lg_u32 s7, 0
	s_delay_alu instid0(VALU_DEP_1) | instskip(NEXT) | instid1(VALU_DEP_1)
	v_pk_mul_f32 v[6:7], v[6:7], v[6:7]
	v_add_f32_e32 v6, v6, v7
	s_delay_alu instid0(VALU_DEP_1) | instskip(NEXT) | instid1(VALU_DEP_1)
	v_dual_mul_f32 v8, 0x4f800000, v11 :: v_dual_mul_f32 v9, 0x4f800000, v6
	v_cndmask_b32_e32 v8, v11, v8, vcc_lo
	v_cmp_gt_f32_e64 s4, 0xf800000, v6
	s_delay_alu instid0(VALU_DEP_2) | instskip(SKIP_1) | instid1(TRANS32_DEP_1)
	v_sqrt_f32_e32 v7, v8
	v_nop
	v_dual_add_nc_u32 v11, -1, v7 :: v_dual_cndmask_b32 v6, v6, v9, s4
	s_delay_alu instid0(VALU_DEP_1) | instskip(NEXT) | instid1(VALU_DEP_2)
	v_dual_add_nc_u32 v9, 1, v7 :: v_dual_fma_f32 v12, -v11, v7, v8
	v_sqrt_f32_e32 v13, v6
	s_delay_alu instid0(VALU_DEP_1) | instskip(NEXT) | instid1(VALU_DEP_2)
	v_fma_f32 v14, -v9, v7, v8
	v_cmp_ge_f32_e64 s5, 0, v12
	s_delay_alu instid0(TRANS32_DEP_1) | instid1(VALU_DEP_1)
	v_dual_cndmask_b32 v7, v7, v11, s5 :: v_dual_add_nc_u32 v11, -1, v13
	s_delay_alu instid0(VALU_DEP_3) | instskip(NEXT) | instid1(VALU_DEP_1)
	v_cmp_lt_f32_e64 s5, 0, v14
	v_cndmask_b32_e64 v7, v7, v9, s5
	s_delay_alu instid0(VALU_DEP_3) | instskip(NEXT) | instid1(VALU_DEP_1)
	v_dual_add_nc_u32 v9, 1, v13 :: v_dual_fma_f32 v12, -v11, v13, v6
	v_fma_f32 v15, -v9, v13, v6
	s_delay_alu instid0(VALU_DEP_2) | instskip(NEXT) | instid1(VALU_DEP_1)
	v_cmp_ge_f32_e64 s5, 0, v12
	v_cndmask_b32_e64 v11, v13, v11, s5
	v_mul_f32_e32 v14, 0x37800000, v7
	s_delay_alu instid0(VALU_DEP_4) | instskip(NEXT) | instid1(VALU_DEP_1)
	v_cmp_lt_f32_e64 s5, 0, v15
	v_cndmask_b32_e64 v9, v11, v9, s5
	s_delay_alu instid0(VALU_DEP_3) | instskip(SKIP_1) | instid1(VALU_DEP_2)
	v_cndmask_b32_e32 v7, v7, v14, vcc_lo
	v_cmp_class_f32_e64 vcc_lo, v8, 0x260
	v_cndmask_b32_e32 v7, v7, v8, vcc_lo
	s_delay_alu instid0(VALU_DEP_1) | instskip(SKIP_3) | instid1(VALU_DEP_2)
	v_cmp_nge_f32_e32 vcc_lo, 1.0, v7
	v_cndmask_b32_e32 v4, v10, v4, vcc_lo
	v_mul_f32_e32 v8, 0x37800000, v9
	v_cmp_class_f32_e64 vcc_lo, v6, 0x260
	v_cndmask_b32_e64 v7, v9, v8, s4
	s_delay_alu instid0(VALU_DEP_1) | instskip(NEXT) | instid1(VALU_DEP_1)
	v_dual_add_f32 v8, 1.0, v4 :: v_dual_cndmask_b32 v6, v7, v6, vcc_lo
	v_cmp_nge_f32_e32 vcc_lo, 1.0, v6
	s_delay_alu instid0(VALU_DEP_2)
	v_cndmask_b32_e32 v4, v8, v4, vcc_lo
	s_cbranch_scc1 .LBB18_67
; %bb.68:
	s_delay_alu instid0(VALU_DEP_1) | instskip(NEXT) | instid1(VALU_DEP_1)
	v_mul_f32_e32 v4, 4.0, v4
	v_div_scale_f32 v5, null, 0x459c4000, 0x459c4000, v4
	s_delay_alu instid0(VALU_DEP_1) | instskip(SKIP_1) | instid1(TRANS32_DEP_1)
	v_rcp_f32_e32 v6, v5
	v_nop
	v_fma_f32 v7, -v5, v6, 1.0
	s_delay_alu instid0(VALU_DEP_1) | instskip(SKIP_1) | instid1(VALU_DEP_1)
	v_fmac_f32_e32 v6, v7, v6
	v_div_scale_f32 v7, vcc_lo, v4, 0x459c4000, v4
	v_mul_f32_e32 v8, v7, v6
	s_delay_alu instid0(VALU_DEP_1) | instskip(NEXT) | instid1(VALU_DEP_1)
	v_fma_f32 v9, -v5, v8, v7
	v_fmac_f32_e32 v8, v9, v6
	s_delay_alu instid0(VALU_DEP_1) | instskip(NEXT) | instid1(VALU_DEP_1)
	v_fma_f32 v5, -v5, v8, v7
	v_div_fmas_f32 v5, v5, v6, v8
	s_delay_alu instid0(VALU_DEP_1)
	v_div_fixup_f32 v4, v5, 0x459c4000, v4
.LBB18_69:
	s_or_b32 exec_lo, exec_lo, s25
	v_or_b32_e32 v5, 0x300, v0
	s_delay_alu instid0(VALU_DEP_1)
	v_cmp_gt_u32_e64 s4, s26, v5
	s_and_saveexec_b32 s27, s4
	s_cbranch_execz .LBB18_79
; %bb.70:
	v_dual_add_nc_u32 v3, s24, v5 :: v_dual_mov_b32 v5, 1
	s_mov_b32 s7, 0
	s_mov_b32 s5, exec_lo
	s_delay_alu instid0(VALU_DEP_1) | instskip(NEXT) | instid1(VALU_DEP_1)
	v_mul_lo_u32 v6, 0x1388, v3
	v_cmpx_ne_u32_e32 0, v6
	s_cbranch_execz .LBB18_76
; %bb.71:
	v_mov_b32_e32 v7, 0
	v_mov_b64_e32 v[10:11], 1
	s_mov_b64 s[24:25], 0xbc8f
	s_mov_b64 s[8:9], 0xfffffffd
	;; [unrolled: 1-line block ×3, first 2 shown]
	v_mov_b64_e32 v[8:9], v[6:7]
	s_mov_b64 s[22:23], 0x80000001
	s_mov_b32 s28, 0
	s_branch .LBB18_73
.LBB18_72:                              ;   in Loop: Header=BB18_73 Depth=1
	s_or_b32 exec_lo, exec_lo, s6
	s_mul_u64 s[24:25], s[24:25], s[24:25]
	s_mov_b32 s31, s7
	s_and_b64 s[34:35], s[24:25], s[8:9]
	s_mov_b32 s6, s25
	s_mul_u64 s[36:37], s[34:35], 3
	s_mul_u64 s[38:39], s[6:7], 3
	s_mov_b32 s30, s37
	s_mul_u64 s[34:35], s[34:35], s[22:23]
	s_add_nc_u64 s[30:31], s[38:39], s[30:31]
	v_lshrrev_b64 v[12:13], 1, v[8:9]
	s_and_b64 s[38:39], s[30:31], s[20:21]
	s_mov_b32 s37, s7
	s_add_nc_u64 s[34:35], s[34:35], s[38:39]
	s_mov_b32 s41, s7
	s_mov_b32 s36, s31
	s_mov_b32 s40, s35
	s_mul_u64 s[34:35], s[6:7], s[22:23]
	s_add_nc_u64 s[30:31], s[36:37], s[40:41]
	v_cmp_gt_u64_e32 vcc_lo, 2, v[8:9]
	s_add_nc_u64 s[30:31], s[34:35], s[30:31]
	v_mov_b64_e32 v[8:9], v[12:13]
	s_lshr_b64 s[30:31], s[30:31], 30
	s_delay_alu instid0(SALU_CYCLE_1)
	s_mul_u64 s[30:31], s[30:31], 0x7fffffff
	s_or_b32 s28, vcc_lo, s28
	s_sub_nc_u64 s[24:25], s[24:25], s[30:31]
	s_and_not1_b32 exec_lo, exec_lo, s28
	s_cbranch_execz .LBB18_75
.LBB18_73:                              ; =>This Inner Loop Header: Depth=1
	s_delay_alu instid0(VALU_DEP_1) | instskip(SKIP_1) | instid1(VALU_DEP_1)
	v_and_b32_e32 v3, 1, v8
	s_mov_b32 s6, exec_lo
	v_cmpx_eq_u32_e32 1, v3
	s_cbranch_execz .LBB18_72
; %bb.74:                               ;   in Loop: Header=BB18_73 Depth=1
	v_mul_u64_e32 v[10:11], s[24:25], v[10:11]
	s_delay_alu instid0(VALU_DEP_1) | instskip(NEXT) | instid1(VALU_DEP_1)
	v_mov_b32_e32 v6, v10
	v_mul_u64_e32 v[12:13], 5, v[6:7]
	s_delay_alu instid0(VALU_DEP_1) | instskip(NEXT) | instid1(VALU_DEP_1)
	v_mov_b32_e32 v6, v13
	v_mad_nc_u64_u32 v[12:13], v11, 5, v[6:7]
	s_delay_alu instid0(VALU_DEP_1) | instskip(NEXT) | instid1(VALU_DEP_1)
	v_dual_mov_b32 v6, v13 :: v_dual_mov_b32 v13, v7
	v_mad_nc_u64_u32 v[12:13], v10, 2, v[12:13]
	s_delay_alu instid0(VALU_DEP_1) | instskip(NEXT) | instid1(VALU_DEP_1)
	v_dual_mov_b32 v12, v13 :: v_dual_mov_b32 v13, v7
	v_add_nc_u64_e32 v[12:13], v[6:7], v[12:13]
	s_delay_alu instid0(VALU_DEP_1) | instskip(NEXT) | instid1(VALU_DEP_1)
	v_mad_nc_u64_u32 v[12:13], v11, 2, v[12:13]
	v_sub_nc_u64_e32 v[14:15], v[10:11], v[12:13]
	s_delay_alu instid0(VALU_DEP_1) | instskip(NEXT) | instid1(VALU_DEP_1)
	v_lshrrev_b64 v[14:15], 1, v[14:15]
	v_add_nc_u64_e32 v[12:13], v[14:15], v[12:13]
	s_delay_alu instid0(VALU_DEP_1) | instskip(NEXT) | instid1(VALU_DEP_1)
	v_lshrrev_b64 v[12:13], 30, v[12:13]
	v_mul_u64_e32 v[12:13], 0x7fffffff, v[12:13]
	s_delay_alu instid0(VALU_DEP_1)
	v_sub_nc_u64_e32 v[10:11], v[10:11], v[12:13]
	s_branch .LBB18_72
.LBB18_75:
	s_or_b32 exec_lo, exec_lo, s28
	v_add_min_u32_e64 v3, 0x80000001, v10, v10
	s_delay_alu instid0(VALU_DEP_1)
	v_add_min_u32_e64 v5, 0x80000001, v3, v3
.LBB18_76:
	s_or_b32 exec_lo, exec_lo, s5
	v_mov_b32_e32 v3, 0
	s_movk_i32 s7, 0x1388
	s_brev_b32 s8, 12
.LBB18_77:                              ; =>This Inner Loop Header: Depth=1
	v_mul_hi_u32 v6, 0xbc8f1391, v5
	s_add_co_i32 s7, s7, -2
	s_delay_alu instid0(SALU_CYCLE_1) | instskip(NEXT) | instid1(VALU_DEP_1)
	s_cmp_lg_u32 s7, 0
	v_lshrrev_b32_e32 v6, 15, v6
	s_delay_alu instid0(VALU_DEP_1) | instskip(NEXT) | instid1(VALU_DEP_1)
	v_mul_u32_u24_e32 v7, 0xadc8, v6
	v_sub_nc_u32_e32 v5, v5, v7
	v_mul_u32_u24_e32 v6, 0xd47, v6
	s_delay_alu instid0(VALU_DEP_2) | instskip(NEXT) | instid1(VALU_DEP_2)
	v_mul_lo_u32 v5, 0xbc8f, v5
	v_xor_b32_e32 v7, 0x7fffffff, v6
	v_sub_nc_u32_e32 v8, 0, v6
	s_delay_alu instid0(VALU_DEP_3) | instskip(NEXT) | instid1(VALU_DEP_2)
	v_cmp_lt_u32_e32 vcc_lo, v5, v6
	v_cndmask_b32_e32 v6, v8, v7, vcc_lo
	s_delay_alu instid0(VALU_DEP_1) | instskip(NEXT) | instid1(VALU_DEP_1)
	v_add_nc_u32_e32 v5, v6, v5
	v_mul_hi_u32 v6, 0xbc8f1391, v5
	s_delay_alu instid0(VALU_DEP_1) | instskip(NEXT) | instid1(VALU_DEP_1)
	v_lshrrev_b32_e32 v6, 15, v6
	v_mul_u32_u24_e32 v7, 0xadc8, v6
	v_mul_u32_u24_e32 v6, 0xd47, v6
	s_delay_alu instid0(VALU_DEP_2) | instskip(NEXT) | instid1(VALU_DEP_2)
	v_sub_nc_u32_e32 v7, v5, v7
	v_xor_b32_e32 v8, 0x7fffffff, v6
	v_add_nc_u32_e32 v5, -1, v5
	s_delay_alu instid0(VALU_DEP_3) | instskip(SKIP_1) | instid1(VALU_DEP_2)
	v_mul_lo_u32 v7, 0xbc8f, v7
	v_sub_nc_u32_e32 v9, 0, v6
	v_cmp_lt_u32_e32 vcc_lo, v7, v6
	s_delay_alu instid0(VALU_DEP_2) | instskip(NEXT) | instid1(VALU_DEP_1)
	v_cndmask_b32_e32 v6, v9, v8, vcc_lo
	v_add_nc_u32_e32 v7, v6, v7
	s_delay_alu instid0(VALU_DEP_1) | instskip(NEXT) | instid1(VALU_DEP_1)
	v_mul_hi_u32 v6, 0xbc8f1391, v7
	v_lshrrev_b32_e32 v6, 15, v6
	s_delay_alu instid0(VALU_DEP_1) | instskip(SKIP_1) | instid1(VALU_DEP_2)
	v_mul_u32_u24_e32 v8, 0xadc8, v6
	v_mul_u32_u24_e32 v6, 0xd47, v6
	v_sub_nc_u32_e32 v8, v7, v8
	s_delay_alu instid0(VALU_DEP_2) | instskip(NEXT) | instid1(VALU_DEP_2)
	v_xor_b32_e32 v9, 0x7fffffff, v6
	v_mul_lo_u32 v8, 0xbc8f, v8
	v_sub_nc_u32_e32 v10, 0, v6
	s_delay_alu instid0(VALU_DEP_2) | instskip(NEXT) | instid1(VALU_DEP_2)
	v_cmp_lt_u32_e32 vcc_lo, v8, v6
	v_dual_cndmask_b32 v6, v10, v9, vcc_lo :: v_dual_add_f32 v10, 1.0, v3
	s_delay_alu instid0(VALU_DEP_1) | instskip(NEXT) | instid1(VALU_DEP_1)
	v_add_nc_u32_e32 v8, v6, v8
	v_mul_hi_u32 v6, 0xbc8f1391, v8
	s_delay_alu instid0(VALU_DEP_1) | instskip(NEXT) | instid1(VALU_DEP_1)
	v_lshrrev_b32_e32 v6, 15, v6
	v_mul_u32_u24_e32 v9, 0xadc8, v6
	v_mul_u32_u24_e32 v11, 0xd47, v6
	v_cvt_f32_u32_e32 v6, v5
	s_delay_alu instid0(VALU_DEP_3) | instskip(NEXT) | instid1(VALU_DEP_3)
	v_sub_nc_u32_e32 v9, v8, v9
	v_xor_b32_e32 v5, 0x7fffffff, v11
	v_dual_sub_nc_u32 v12, 0, v11 :: v_dual_add_nc_u32 v8, -1, v8
	s_delay_alu instid0(VALU_DEP_3) | instskip(NEXT) | instid1(VALU_DEP_2)
	v_mul_lo_u32 v9, 0xbc8f, v9
	v_cvt_f32_u32_e32 v8, v8
	s_delay_alu instid0(VALU_DEP_2) | instskip(NEXT) | instid1(VALU_DEP_4)
	v_cmp_lt_u32_e32 vcc_lo, v9, v11
	v_dual_add_nc_u32 v7, -1, v7 :: v_dual_cndmask_b32 v5, v12, v5, vcc_lo
	s_delay_alu instid0(VALU_DEP_1) | instskip(NEXT) | instid1(VALU_DEP_2)
	v_cvt_f32_u32_e32 v7, v7
	v_add_nc_u32_e32 v5, v5, v9
	s_delay_alu instid0(VALU_DEP_2) | instskip(NEXT) | instid1(VALU_DEP_1)
	v_pk_fma_f32 v[6:7], v[6:7], s[8:9], 0 op_sel_hi:[1,0,0]
	v_pk_mul_f32 v[6:7], v[6:7], v[6:7]
	s_delay_alu instid0(VALU_DEP_1) | instskip(NEXT) | instid1(VALU_DEP_1)
	v_dual_add_nc_u32 v9, -1, v5 :: v_dual_add_f32 v11, v6, v7
	v_cvt_f32_u32_e32 v9, v9
	s_delay_alu instid0(VALU_DEP_2) | instskip(NEXT) | instid1(VALU_DEP_2)
	v_cmp_gt_f32_e32 vcc_lo, 0xf800000, v11
	v_pk_fma_f32 v[6:7], v[8:9], s[8:9], 0 op_sel_hi:[1,0,0]
	s_delay_alu instid0(VALU_DEP_1) | instskip(NEXT) | instid1(VALU_DEP_1)
	v_pk_mul_f32 v[6:7], v[6:7], v[6:7]
	v_add_f32_e32 v6, v6, v7
	s_delay_alu instid0(VALU_DEP_1) | instskip(NEXT) | instid1(VALU_DEP_1)
	v_dual_mul_f32 v8, 0x4f800000, v11 :: v_dual_mul_f32 v9, 0x4f800000, v6
	v_cndmask_b32_e32 v8, v11, v8, vcc_lo
	v_cmp_gt_f32_e64 s5, 0xf800000, v6
	s_delay_alu instid0(VALU_DEP_2) | instskip(SKIP_1) | instid1(TRANS32_DEP_1)
	v_sqrt_f32_e32 v7, v8
	v_nop
	v_dual_add_nc_u32 v11, -1, v7 :: v_dual_cndmask_b32 v6, v6, v9, s5
	s_delay_alu instid0(VALU_DEP_1) | instskip(NEXT) | instid1(VALU_DEP_2)
	v_dual_add_nc_u32 v9, 1, v7 :: v_dual_fma_f32 v12, -v11, v7, v8
	v_sqrt_f32_e32 v13, v6
	s_delay_alu instid0(VALU_DEP_1) | instskip(NEXT) | instid1(VALU_DEP_2)
	v_fma_f32 v14, -v9, v7, v8
	v_cmp_ge_f32_e64 s6, 0, v12
	s_delay_alu instid0(TRANS32_DEP_1) | instid1(VALU_DEP_1)
	v_dual_cndmask_b32 v7, v7, v11, s6 :: v_dual_add_nc_u32 v11, -1, v13
	s_delay_alu instid0(VALU_DEP_3) | instskip(NEXT) | instid1(VALU_DEP_1)
	v_cmp_lt_f32_e64 s6, 0, v14
	v_cndmask_b32_e64 v7, v7, v9, s6
	s_delay_alu instid0(VALU_DEP_3) | instskip(NEXT) | instid1(VALU_DEP_1)
	v_dual_add_nc_u32 v9, 1, v13 :: v_dual_fma_f32 v12, -v11, v13, v6
	v_fma_f32 v15, -v9, v13, v6
	s_delay_alu instid0(VALU_DEP_2) | instskip(NEXT) | instid1(VALU_DEP_1)
	v_cmp_ge_f32_e64 s6, 0, v12
	v_cndmask_b32_e64 v11, v13, v11, s6
	v_mul_f32_e32 v14, 0x37800000, v7
	s_delay_alu instid0(VALU_DEP_4) | instskip(NEXT) | instid1(VALU_DEP_1)
	v_cmp_lt_f32_e64 s6, 0, v15
	v_cndmask_b32_e64 v9, v11, v9, s6
	s_delay_alu instid0(VALU_DEP_3) | instskip(SKIP_1) | instid1(VALU_DEP_2)
	v_cndmask_b32_e32 v7, v7, v14, vcc_lo
	v_cmp_class_f32_e64 vcc_lo, v8, 0x260
	v_cndmask_b32_e32 v7, v7, v8, vcc_lo
	s_delay_alu instid0(VALU_DEP_1) | instskip(SKIP_2) | instid1(VALU_DEP_2)
	v_cmp_nge_f32_e32 vcc_lo, 1.0, v7
	v_dual_cndmask_b32 v3, v10, v3 :: v_dual_mul_f32 v8, 0x37800000, v9
	v_cmp_class_f32_e64 vcc_lo, v6, 0x260
	v_dual_cndmask_b32 v7, v9, v8, s5 :: v_dual_add_f32 v8, 1.0, v3
	s_delay_alu instid0(VALU_DEP_1) | instskip(NEXT) | instid1(VALU_DEP_1)
	v_cndmask_b32_e32 v6, v7, v6, vcc_lo
	v_cmp_nge_f32_e32 vcc_lo, 1.0, v6
	s_delay_alu instid0(VALU_DEP_3)
	v_cndmask_b32_e32 v3, v8, v3, vcc_lo
	s_cbranch_scc1 .LBB18_77
; %bb.78:
	s_delay_alu instid0(VALU_DEP_1) | instskip(NEXT) | instid1(VALU_DEP_1)
	v_mul_f32_e32 v3, 4.0, v3
	v_div_scale_f32 v5, null, 0x459c4000, 0x459c4000, v3
	s_delay_alu instid0(VALU_DEP_1) | instskip(SKIP_1) | instid1(TRANS32_DEP_1)
	v_rcp_f32_e32 v6, v5
	v_nop
	v_fma_f32 v7, -v5, v6, 1.0
	s_delay_alu instid0(VALU_DEP_1) | instskip(SKIP_1) | instid1(VALU_DEP_1)
	v_fmac_f32_e32 v6, v7, v6
	v_div_scale_f32 v7, vcc_lo, v3, 0x459c4000, v3
	v_mul_f32_e32 v8, v7, v6
	s_delay_alu instid0(VALU_DEP_1) | instskip(NEXT) | instid1(VALU_DEP_1)
	v_fma_f32 v9, -v5, v8, v7
	v_fmac_f32_e32 v8, v9, v6
	s_delay_alu instid0(VALU_DEP_1) | instskip(NEXT) | instid1(VALU_DEP_1)
	v_fma_f32 v5, -v5, v8, v7
	v_div_fmas_f32 v5, v5, v6, v8
	s_delay_alu instid0(VALU_DEP_1)
	v_div_fixup_f32 v3, v5, 0x459c4000, v3
.LBB18_79:
	s_or_b32 exec_lo, exec_lo, s27
	v_add_f32_e32 v1, v2, v1
	s_delay_alu instid0(VALU_DEP_1) | instskip(SKIP_1) | instid1(VALU_DEP_2)
	v_cndmask_b32_e64 v2, v2, v1, s2
	v_mbcnt_lo_u32_b32 v1, -1, 0
	v_add_f32_e32 v4, v4, v2
	s_delay_alu instid0(VALU_DEP_2) | instskip(SKIP_2) | instid1(VALU_DEP_4)
	v_cmp_ne_u32_e32 vcc_lo, 31, v1
	v_cmp_gt_u32_e64 s2, 28, v1
	v_dual_add_nc_u32 v6, 1, v1 :: v_dual_add_nc_u32 v7, 2, v1
	v_cndmask_b32_e64 v2, v2, v4, s3
	v_add_co_ci_u32_e64 v4, null, 0, v1, vcc_lo
	s_min_u32 s3, s26, 0x100
	v_cmp_gt_u32_e32 vcc_lo, 30, v1
	v_dual_add_f32 v3, v3, v2 :: v_dual_lshlrev_b32 v4, 2, v4
	v_cndmask_b32_e64 v5, 0, 2, vcc_lo
	s_delay_alu instid0(VALU_DEP_2) | instskip(NEXT) | instid1(VALU_DEP_2)
	v_cndmask_b32_e64 v2, v2, v3, s4
	v_add_lshl_u32 v5, v5, v1, 2
	ds_bpermute_b32 v3, v4, v2
	v_and_b32_e32 v4, 0xe0, v0
	s_delay_alu instid0(VALU_DEP_1) | instskip(NEXT) | instid1(VALU_DEP_1)
	v_sub_nc_u32_e64 v4, s3, v4 clamp
	v_cmp_lt_u32_e32 vcc_lo, v6, v4
	v_cndmask_b32_e64 v6, 0, 4, s2
	v_cmp_lt_u32_e64 s2, v7, v4
	v_add_nc_u32_e32 v7, 4, v1
	s_delay_alu instid0(VALU_DEP_3) | instskip(SKIP_2) | instid1(VALU_DEP_1)
	v_add_lshl_u32 v6, v6, v1, 2
	s_wait_dscnt 0x0
	v_add_f32_e32 v3, v2, v3
	v_cndmask_b32_e32 v3, v2, v3, vcc_lo
	ds_bpermute_b32 v5, v5, v3
	s_wait_dscnt 0x0
	v_add_f32_e32 v5, v3, v5
	s_delay_alu instid0(VALU_DEP_1)
	v_cndmask_b32_e64 v3, v3, v5, s2
	v_cmp_gt_u32_e64 s2, 24, v1
	ds_bpermute_b32 v5, v6, v3
	v_cndmask_b32_e64 v6, 0, 8, s2
	v_cmp_lt_u32_e64 s2, v7, v4
	v_add_nc_u32_e32 v7, 8, v1
	s_delay_alu instid0(VALU_DEP_3) | instskip(SKIP_2) | instid1(VALU_DEP_1)
	v_add_lshl_u32 v6, v6, v1, 2
	s_wait_dscnt 0x0
	v_add_f32_e32 v5, v3, v5
	v_cndmask_b32_e64 v5, v3, v5, s2
	v_cmp_lt_u32_e64 s2, v7, v4
	ds_bpermute_b32 v6, v6, v5
	s_wait_dscnt 0x0
	v_dual_add_f32 v6, v5, v6 :: v_dual_lshlrev_b32 v3, 2, v1
	s_delay_alu instid0(VALU_DEP_1) | instskip(SKIP_3) | instid1(VALU_DEP_1)
	v_dual_cndmask_b32 v5, v5, v6, s2 :: v_dual_bitop2_b32 v8, 64, v3 bitop3:0x54
	ds_bpermute_b32 v6, v8, v5
	s_wait_dscnt 0x0
	v_dual_add_f32 v6, v5, v6 :: v_dual_add_nc_u32 v7, 16, v1
	v_cmp_lt_u32_e64 s2, v7, v4
	s_delay_alu instid0(VALU_DEP_1) | instskip(SKIP_1) | instid1(VALU_DEP_1)
	v_cndmask_b32_e64 v4, v5, v6, s2
	s_mov_b32 s2, exec_lo
	v_cndmask_b32_e32 v2, v2, v4, vcc_lo
	v_cmpx_eq_u32_e32 0, v1
; %bb.80:
	v_lshrrev_b32_e32 v4, 3, v0
	s_delay_alu instid0(VALU_DEP_1)
	v_and_b32_e32 v4, 28, v4
	ds_store_b32 v4, v2 offset:32
; %bb.81:
	s_or_b32 exec_lo, exec_lo, s2
	s_delay_alu instid0(SALU_CYCLE_1)
	s_mov_b32 s4, exec_lo
	s_wait_dscnt 0x0
	s_barrier_signal -1
	s_barrier_wait -1
	v_cmpx_gt_u32_e32 8, v0
	s_cbranch_execz .LBB18_83
; %bb.82:
	ds_load_b32 v2, v3 offset:32
	v_and_b32_e32 v4, 7, v1
	s_add_co_i32 s3, s3, 31
	v_or_b32_e32 v3, 16, v3
	s_lshr_b32 s3, s3, 5
	s_delay_alu instid0(VALU_DEP_2) | instskip(SKIP_3) | instid1(VALU_DEP_2)
	v_cmp_ne_u32_e32 vcc_lo, 7, v4
	v_add_nc_u32_e32 v7, 1, v4
	v_add_co_ci_u32_e64 v5, null, 0, v1, vcc_lo
	v_cmp_gt_u32_e32 vcc_lo, 6, v4
	v_lshlrev_b32_e32 v5, 2, v5
	v_cndmask_b32_e64 v6, 0, 2, vcc_lo
	v_cmp_gt_u32_e32 vcc_lo, s3, v7
	s_wait_dscnt 0x0
	ds_bpermute_b32 v5, v5, v2
	v_add_lshl_u32 v1, v6, v1, 2
	s_wait_dscnt 0x0
	v_add_f32_e32 v5, v2, v5
	s_delay_alu instid0(VALU_DEP_1) | instskip(SKIP_4) | instid1(VALU_DEP_2)
	v_cndmask_b32_e32 v5, v2, v5, vcc_lo
	ds_bpermute_b32 v1, v1, v5
	s_wait_dscnt 0x0
	v_dual_add_f32 v1, v5, v1 :: v_dual_add_nc_u32 v6, 2, v4
	v_add_nc_u32_e32 v4, 4, v4
	v_cmp_gt_u32_e64 s2, s3, v6
	s_delay_alu instid0(VALU_DEP_1) | instskip(NEXT) | instid1(VALU_DEP_3)
	v_cndmask_b32_e64 v1, v5, v1, s2
	v_cmp_gt_u32_e64 s2, s3, v4
	ds_bpermute_b32 v3, v3, v1
	s_wait_dscnt 0x0
	v_add_f32_e32 v3, v1, v3
	s_delay_alu instid0(VALU_DEP_1) | instskip(NEXT) | instid1(VALU_DEP_1)
	v_cndmask_b32_e64 v1, v1, v3, s2
	v_cndmask_b32_e32 v2, v2, v1, vcc_lo
.LBB18_83:
	s_or_b32 exec_lo, exec_lo, s4
.LBB18_84:
	s_load_b32 s0, s[0:1], 0x30
	s_wait_xcnt 0x0
	s_mov_b32 s1, exec_lo
	v_cmpx_eq_u32_e32 0, v0
	s_cbranch_execz .LBB18_86
; %bb.85:
	s_mul_u64 s[2:3], s[16:17], s[14:15]
	v_mov_b32_e32 v1, 0
	s_lshl_b64 s[2:3], s[2:3], 2
	s_cmp_eq_u64 s[10:11], 0
	s_add_nc_u64 s[2:3], s[12:13], s[2:3]
	s_cselect_b32 s1, -1, 0
	s_wait_kmcnt 0x0
	v_cndmask_b32_e64 v0, v2, s0, s1
	s_lshl_b64 s[0:1], s[18:19], 2
	s_delay_alu instid0(SALU_CYCLE_1)
	s_add_nc_u64 s[0:1], s[2:3], s[0:1]
	global_store_b32 v1, v0, s[0:1]
.LBB18_86:
	s_endpgm
	.section	.rodata,"a",@progbits
	.p2align	6, 0x0
	.amdhsa_kernel _ZN7rocprim17ROCPRIM_400000_NS6detail17trampoline_kernelINS0_14default_configENS1_22reduce_config_selectorIfEEZNS1_11reduce_implILb1ES3_N6thrust23THRUST_200600_302600_NS11hip_rocprim26transform_input_iterator_tIfNS8_17counting_iteratorIiNS8_11use_defaultESC_SC_EE11estimate_piEEPffNS8_4plusIfEEEE10hipError_tPvRmT1_T2_T3_mT4_P12ihipStream_tbEUlT_E0_NS1_11comp_targetILNS1_3genE0ELNS1_11target_archE4294967295ELNS1_3gpuE0ELNS1_3repE0EEENS1_30default_config_static_selectorELNS0_4arch9wavefront6targetE0EEEvSM_
		.amdhsa_group_segment_fixed_size 64
		.amdhsa_private_segment_fixed_size 0
		.amdhsa_kernarg_size 56
		.amdhsa_user_sgpr_count 2
		.amdhsa_user_sgpr_dispatch_ptr 0
		.amdhsa_user_sgpr_queue_ptr 0
		.amdhsa_user_sgpr_kernarg_segment_ptr 1
		.amdhsa_user_sgpr_dispatch_id 0
		.amdhsa_user_sgpr_kernarg_preload_length 0
		.amdhsa_user_sgpr_kernarg_preload_offset 0
		.amdhsa_user_sgpr_private_segment_size 0
		.amdhsa_wavefront_size32 1
		.amdhsa_uses_dynamic_stack 0
		.amdhsa_enable_private_segment 0
		.amdhsa_system_sgpr_workgroup_id_x 1
		.amdhsa_system_sgpr_workgroup_id_y 0
		.amdhsa_system_sgpr_workgroup_id_z 0
		.amdhsa_system_sgpr_workgroup_info 0
		.amdhsa_system_vgpr_workitem_id 0
		.amdhsa_next_free_vgpr 23
		.amdhsa_next_free_sgpr 42
		.amdhsa_named_barrier_count 0
		.amdhsa_reserve_vcc 1
		.amdhsa_float_round_mode_32 0
		.amdhsa_float_round_mode_16_64 0
		.amdhsa_float_denorm_mode_32 3
		.amdhsa_float_denorm_mode_16_64 3
		.amdhsa_fp16_overflow 0
		.amdhsa_memory_ordered 1
		.amdhsa_forward_progress 1
		.amdhsa_inst_pref_size 92
		.amdhsa_round_robin_scheduling 0
		.amdhsa_exception_fp_ieee_invalid_op 0
		.amdhsa_exception_fp_denorm_src 0
		.amdhsa_exception_fp_ieee_div_zero 0
		.amdhsa_exception_fp_ieee_overflow 0
		.amdhsa_exception_fp_ieee_underflow 0
		.amdhsa_exception_fp_ieee_inexact 0
		.amdhsa_exception_int_div_zero 0
	.end_amdhsa_kernel
	.section	.text._ZN7rocprim17ROCPRIM_400000_NS6detail17trampoline_kernelINS0_14default_configENS1_22reduce_config_selectorIfEEZNS1_11reduce_implILb1ES3_N6thrust23THRUST_200600_302600_NS11hip_rocprim26transform_input_iterator_tIfNS8_17counting_iteratorIiNS8_11use_defaultESC_SC_EE11estimate_piEEPffNS8_4plusIfEEEE10hipError_tPvRmT1_T2_T3_mT4_P12ihipStream_tbEUlT_E0_NS1_11comp_targetILNS1_3genE0ELNS1_11target_archE4294967295ELNS1_3gpuE0ELNS1_3repE0EEENS1_30default_config_static_selectorELNS0_4arch9wavefront6targetE0EEEvSM_,"axG",@progbits,_ZN7rocprim17ROCPRIM_400000_NS6detail17trampoline_kernelINS0_14default_configENS1_22reduce_config_selectorIfEEZNS1_11reduce_implILb1ES3_N6thrust23THRUST_200600_302600_NS11hip_rocprim26transform_input_iterator_tIfNS8_17counting_iteratorIiNS8_11use_defaultESC_SC_EE11estimate_piEEPffNS8_4plusIfEEEE10hipError_tPvRmT1_T2_T3_mT4_P12ihipStream_tbEUlT_E0_NS1_11comp_targetILNS1_3genE0ELNS1_11target_archE4294967295ELNS1_3gpuE0ELNS1_3repE0EEENS1_30default_config_static_selectorELNS0_4arch9wavefront6targetE0EEEvSM_,comdat
.Lfunc_end18:
	.size	_ZN7rocprim17ROCPRIM_400000_NS6detail17trampoline_kernelINS0_14default_configENS1_22reduce_config_selectorIfEEZNS1_11reduce_implILb1ES3_N6thrust23THRUST_200600_302600_NS11hip_rocprim26transform_input_iterator_tIfNS8_17counting_iteratorIiNS8_11use_defaultESC_SC_EE11estimate_piEEPffNS8_4plusIfEEEE10hipError_tPvRmT1_T2_T3_mT4_P12ihipStream_tbEUlT_E0_NS1_11comp_targetILNS1_3genE0ELNS1_11target_archE4294967295ELNS1_3gpuE0ELNS1_3repE0EEENS1_30default_config_static_selectorELNS0_4arch9wavefront6targetE0EEEvSM_, .Lfunc_end18-_ZN7rocprim17ROCPRIM_400000_NS6detail17trampoline_kernelINS0_14default_configENS1_22reduce_config_selectorIfEEZNS1_11reduce_implILb1ES3_N6thrust23THRUST_200600_302600_NS11hip_rocprim26transform_input_iterator_tIfNS8_17counting_iteratorIiNS8_11use_defaultESC_SC_EE11estimate_piEEPffNS8_4plusIfEEEE10hipError_tPvRmT1_T2_T3_mT4_P12ihipStream_tbEUlT_E0_NS1_11comp_targetILNS1_3genE0ELNS1_11target_archE4294967295ELNS1_3gpuE0ELNS1_3repE0EEENS1_30default_config_static_selectorELNS0_4arch9wavefront6targetE0EEEvSM_
                                        ; -- End function
	.set _ZN7rocprim17ROCPRIM_400000_NS6detail17trampoline_kernelINS0_14default_configENS1_22reduce_config_selectorIfEEZNS1_11reduce_implILb1ES3_N6thrust23THRUST_200600_302600_NS11hip_rocprim26transform_input_iterator_tIfNS8_17counting_iteratorIiNS8_11use_defaultESC_SC_EE11estimate_piEEPffNS8_4plusIfEEEE10hipError_tPvRmT1_T2_T3_mT4_P12ihipStream_tbEUlT_E0_NS1_11comp_targetILNS1_3genE0ELNS1_11target_archE4294967295ELNS1_3gpuE0ELNS1_3repE0EEENS1_30default_config_static_selectorELNS0_4arch9wavefront6targetE0EEEvSM_.num_vgpr, 23
	.set _ZN7rocprim17ROCPRIM_400000_NS6detail17trampoline_kernelINS0_14default_configENS1_22reduce_config_selectorIfEEZNS1_11reduce_implILb1ES3_N6thrust23THRUST_200600_302600_NS11hip_rocprim26transform_input_iterator_tIfNS8_17counting_iteratorIiNS8_11use_defaultESC_SC_EE11estimate_piEEPffNS8_4plusIfEEEE10hipError_tPvRmT1_T2_T3_mT4_P12ihipStream_tbEUlT_E0_NS1_11comp_targetILNS1_3genE0ELNS1_11target_archE4294967295ELNS1_3gpuE0ELNS1_3repE0EEENS1_30default_config_static_selectorELNS0_4arch9wavefront6targetE0EEEvSM_.num_agpr, 0
	.set _ZN7rocprim17ROCPRIM_400000_NS6detail17trampoline_kernelINS0_14default_configENS1_22reduce_config_selectorIfEEZNS1_11reduce_implILb1ES3_N6thrust23THRUST_200600_302600_NS11hip_rocprim26transform_input_iterator_tIfNS8_17counting_iteratorIiNS8_11use_defaultESC_SC_EE11estimate_piEEPffNS8_4plusIfEEEE10hipError_tPvRmT1_T2_T3_mT4_P12ihipStream_tbEUlT_E0_NS1_11comp_targetILNS1_3genE0ELNS1_11target_archE4294967295ELNS1_3gpuE0ELNS1_3repE0EEENS1_30default_config_static_selectorELNS0_4arch9wavefront6targetE0EEEvSM_.numbered_sgpr, 42
	.set _ZN7rocprim17ROCPRIM_400000_NS6detail17trampoline_kernelINS0_14default_configENS1_22reduce_config_selectorIfEEZNS1_11reduce_implILb1ES3_N6thrust23THRUST_200600_302600_NS11hip_rocprim26transform_input_iterator_tIfNS8_17counting_iteratorIiNS8_11use_defaultESC_SC_EE11estimate_piEEPffNS8_4plusIfEEEE10hipError_tPvRmT1_T2_T3_mT4_P12ihipStream_tbEUlT_E0_NS1_11comp_targetILNS1_3genE0ELNS1_11target_archE4294967295ELNS1_3gpuE0ELNS1_3repE0EEENS1_30default_config_static_selectorELNS0_4arch9wavefront6targetE0EEEvSM_.num_named_barrier, 0
	.set _ZN7rocprim17ROCPRIM_400000_NS6detail17trampoline_kernelINS0_14default_configENS1_22reduce_config_selectorIfEEZNS1_11reduce_implILb1ES3_N6thrust23THRUST_200600_302600_NS11hip_rocprim26transform_input_iterator_tIfNS8_17counting_iteratorIiNS8_11use_defaultESC_SC_EE11estimate_piEEPffNS8_4plusIfEEEE10hipError_tPvRmT1_T2_T3_mT4_P12ihipStream_tbEUlT_E0_NS1_11comp_targetILNS1_3genE0ELNS1_11target_archE4294967295ELNS1_3gpuE0ELNS1_3repE0EEENS1_30default_config_static_selectorELNS0_4arch9wavefront6targetE0EEEvSM_.private_seg_size, 0
	.set _ZN7rocprim17ROCPRIM_400000_NS6detail17trampoline_kernelINS0_14default_configENS1_22reduce_config_selectorIfEEZNS1_11reduce_implILb1ES3_N6thrust23THRUST_200600_302600_NS11hip_rocprim26transform_input_iterator_tIfNS8_17counting_iteratorIiNS8_11use_defaultESC_SC_EE11estimate_piEEPffNS8_4plusIfEEEE10hipError_tPvRmT1_T2_T3_mT4_P12ihipStream_tbEUlT_E0_NS1_11comp_targetILNS1_3genE0ELNS1_11target_archE4294967295ELNS1_3gpuE0ELNS1_3repE0EEENS1_30default_config_static_selectorELNS0_4arch9wavefront6targetE0EEEvSM_.uses_vcc, 1
	.set _ZN7rocprim17ROCPRIM_400000_NS6detail17trampoline_kernelINS0_14default_configENS1_22reduce_config_selectorIfEEZNS1_11reduce_implILb1ES3_N6thrust23THRUST_200600_302600_NS11hip_rocprim26transform_input_iterator_tIfNS8_17counting_iteratorIiNS8_11use_defaultESC_SC_EE11estimate_piEEPffNS8_4plusIfEEEE10hipError_tPvRmT1_T2_T3_mT4_P12ihipStream_tbEUlT_E0_NS1_11comp_targetILNS1_3genE0ELNS1_11target_archE4294967295ELNS1_3gpuE0ELNS1_3repE0EEENS1_30default_config_static_selectorELNS0_4arch9wavefront6targetE0EEEvSM_.uses_flat_scratch, 0
	.set _ZN7rocprim17ROCPRIM_400000_NS6detail17trampoline_kernelINS0_14default_configENS1_22reduce_config_selectorIfEEZNS1_11reduce_implILb1ES3_N6thrust23THRUST_200600_302600_NS11hip_rocprim26transform_input_iterator_tIfNS8_17counting_iteratorIiNS8_11use_defaultESC_SC_EE11estimate_piEEPffNS8_4plusIfEEEE10hipError_tPvRmT1_T2_T3_mT4_P12ihipStream_tbEUlT_E0_NS1_11comp_targetILNS1_3genE0ELNS1_11target_archE4294967295ELNS1_3gpuE0ELNS1_3repE0EEENS1_30default_config_static_selectorELNS0_4arch9wavefront6targetE0EEEvSM_.has_dyn_sized_stack, 0
	.set _ZN7rocprim17ROCPRIM_400000_NS6detail17trampoline_kernelINS0_14default_configENS1_22reduce_config_selectorIfEEZNS1_11reduce_implILb1ES3_N6thrust23THRUST_200600_302600_NS11hip_rocprim26transform_input_iterator_tIfNS8_17counting_iteratorIiNS8_11use_defaultESC_SC_EE11estimate_piEEPffNS8_4plusIfEEEE10hipError_tPvRmT1_T2_T3_mT4_P12ihipStream_tbEUlT_E0_NS1_11comp_targetILNS1_3genE0ELNS1_11target_archE4294967295ELNS1_3gpuE0ELNS1_3repE0EEENS1_30default_config_static_selectorELNS0_4arch9wavefront6targetE0EEEvSM_.has_recursion, 0
	.set _ZN7rocprim17ROCPRIM_400000_NS6detail17trampoline_kernelINS0_14default_configENS1_22reduce_config_selectorIfEEZNS1_11reduce_implILb1ES3_N6thrust23THRUST_200600_302600_NS11hip_rocprim26transform_input_iterator_tIfNS8_17counting_iteratorIiNS8_11use_defaultESC_SC_EE11estimate_piEEPffNS8_4plusIfEEEE10hipError_tPvRmT1_T2_T3_mT4_P12ihipStream_tbEUlT_E0_NS1_11comp_targetILNS1_3genE0ELNS1_11target_archE4294967295ELNS1_3gpuE0ELNS1_3repE0EEENS1_30default_config_static_selectorELNS0_4arch9wavefront6targetE0EEEvSM_.has_indirect_call, 0
	.section	.AMDGPU.csdata,"",@progbits
; Kernel info:
; codeLenInByte = 11760
; TotalNumSgprs: 44
; NumVgprs: 23
; ScratchSize: 0
; MemoryBound: 0
; FloatMode: 240
; IeeeMode: 1
; LDSByteSize: 64 bytes/workgroup (compile time only)
; SGPRBlocks: 0
; VGPRBlocks: 1
; NumSGPRsForWavesPerEU: 44
; NumVGPRsForWavesPerEU: 23
; NamedBarCnt: 0
; Occupancy: 16
; WaveLimiterHint : 0
; COMPUTE_PGM_RSRC2:SCRATCH_EN: 0
; COMPUTE_PGM_RSRC2:USER_SGPR: 2
; COMPUTE_PGM_RSRC2:TRAP_HANDLER: 0
; COMPUTE_PGM_RSRC2:TGID_X_EN: 1
; COMPUTE_PGM_RSRC2:TGID_Y_EN: 0
; COMPUTE_PGM_RSRC2:TGID_Z_EN: 0
; COMPUTE_PGM_RSRC2:TIDIG_COMP_CNT: 0
	.section	.text._ZN7rocprim17ROCPRIM_400000_NS6detail17trampoline_kernelINS0_14default_configENS1_22reduce_config_selectorIfEEZNS1_11reduce_implILb1ES3_N6thrust23THRUST_200600_302600_NS11hip_rocprim26transform_input_iterator_tIfNS8_17counting_iteratorIiNS8_11use_defaultESC_SC_EE11estimate_piEEPffNS8_4plusIfEEEE10hipError_tPvRmT1_T2_T3_mT4_P12ihipStream_tbEUlT_E0_NS1_11comp_targetILNS1_3genE5ELNS1_11target_archE942ELNS1_3gpuE9ELNS1_3repE0EEENS1_30default_config_static_selectorELNS0_4arch9wavefront6targetE0EEEvSM_,"axG",@progbits,_ZN7rocprim17ROCPRIM_400000_NS6detail17trampoline_kernelINS0_14default_configENS1_22reduce_config_selectorIfEEZNS1_11reduce_implILb1ES3_N6thrust23THRUST_200600_302600_NS11hip_rocprim26transform_input_iterator_tIfNS8_17counting_iteratorIiNS8_11use_defaultESC_SC_EE11estimate_piEEPffNS8_4plusIfEEEE10hipError_tPvRmT1_T2_T3_mT4_P12ihipStream_tbEUlT_E0_NS1_11comp_targetILNS1_3genE5ELNS1_11target_archE942ELNS1_3gpuE9ELNS1_3repE0EEENS1_30default_config_static_selectorELNS0_4arch9wavefront6targetE0EEEvSM_,comdat
	.protected	_ZN7rocprim17ROCPRIM_400000_NS6detail17trampoline_kernelINS0_14default_configENS1_22reduce_config_selectorIfEEZNS1_11reduce_implILb1ES3_N6thrust23THRUST_200600_302600_NS11hip_rocprim26transform_input_iterator_tIfNS8_17counting_iteratorIiNS8_11use_defaultESC_SC_EE11estimate_piEEPffNS8_4plusIfEEEE10hipError_tPvRmT1_T2_T3_mT4_P12ihipStream_tbEUlT_E0_NS1_11comp_targetILNS1_3genE5ELNS1_11target_archE942ELNS1_3gpuE9ELNS1_3repE0EEENS1_30default_config_static_selectorELNS0_4arch9wavefront6targetE0EEEvSM_ ; -- Begin function _ZN7rocprim17ROCPRIM_400000_NS6detail17trampoline_kernelINS0_14default_configENS1_22reduce_config_selectorIfEEZNS1_11reduce_implILb1ES3_N6thrust23THRUST_200600_302600_NS11hip_rocprim26transform_input_iterator_tIfNS8_17counting_iteratorIiNS8_11use_defaultESC_SC_EE11estimate_piEEPffNS8_4plusIfEEEE10hipError_tPvRmT1_T2_T3_mT4_P12ihipStream_tbEUlT_E0_NS1_11comp_targetILNS1_3genE5ELNS1_11target_archE942ELNS1_3gpuE9ELNS1_3repE0EEENS1_30default_config_static_selectorELNS0_4arch9wavefront6targetE0EEEvSM_
	.globl	_ZN7rocprim17ROCPRIM_400000_NS6detail17trampoline_kernelINS0_14default_configENS1_22reduce_config_selectorIfEEZNS1_11reduce_implILb1ES3_N6thrust23THRUST_200600_302600_NS11hip_rocprim26transform_input_iterator_tIfNS8_17counting_iteratorIiNS8_11use_defaultESC_SC_EE11estimate_piEEPffNS8_4plusIfEEEE10hipError_tPvRmT1_T2_T3_mT4_P12ihipStream_tbEUlT_E0_NS1_11comp_targetILNS1_3genE5ELNS1_11target_archE942ELNS1_3gpuE9ELNS1_3repE0EEENS1_30default_config_static_selectorELNS0_4arch9wavefront6targetE0EEEvSM_
	.p2align	8
	.type	_ZN7rocprim17ROCPRIM_400000_NS6detail17trampoline_kernelINS0_14default_configENS1_22reduce_config_selectorIfEEZNS1_11reduce_implILb1ES3_N6thrust23THRUST_200600_302600_NS11hip_rocprim26transform_input_iterator_tIfNS8_17counting_iteratorIiNS8_11use_defaultESC_SC_EE11estimate_piEEPffNS8_4plusIfEEEE10hipError_tPvRmT1_T2_T3_mT4_P12ihipStream_tbEUlT_E0_NS1_11comp_targetILNS1_3genE5ELNS1_11target_archE942ELNS1_3gpuE9ELNS1_3repE0EEENS1_30default_config_static_selectorELNS0_4arch9wavefront6targetE0EEEvSM_,@function
_ZN7rocprim17ROCPRIM_400000_NS6detail17trampoline_kernelINS0_14default_configENS1_22reduce_config_selectorIfEEZNS1_11reduce_implILb1ES3_N6thrust23THRUST_200600_302600_NS11hip_rocprim26transform_input_iterator_tIfNS8_17counting_iteratorIiNS8_11use_defaultESC_SC_EE11estimate_piEEPffNS8_4plusIfEEEE10hipError_tPvRmT1_T2_T3_mT4_P12ihipStream_tbEUlT_E0_NS1_11comp_targetILNS1_3genE5ELNS1_11target_archE942ELNS1_3gpuE9ELNS1_3repE0EEENS1_30default_config_static_selectorELNS0_4arch9wavefront6targetE0EEEvSM_: ; @_ZN7rocprim17ROCPRIM_400000_NS6detail17trampoline_kernelINS0_14default_configENS1_22reduce_config_selectorIfEEZNS1_11reduce_implILb1ES3_N6thrust23THRUST_200600_302600_NS11hip_rocprim26transform_input_iterator_tIfNS8_17counting_iteratorIiNS8_11use_defaultESC_SC_EE11estimate_piEEPffNS8_4plusIfEEEE10hipError_tPvRmT1_T2_T3_mT4_P12ihipStream_tbEUlT_E0_NS1_11comp_targetILNS1_3genE5ELNS1_11target_archE942ELNS1_3gpuE9ELNS1_3repE0EEENS1_30default_config_static_selectorELNS0_4arch9wavefront6targetE0EEEvSM_
; %bb.0:
	.section	.rodata,"a",@progbits
	.p2align	6, 0x0
	.amdhsa_kernel _ZN7rocprim17ROCPRIM_400000_NS6detail17trampoline_kernelINS0_14default_configENS1_22reduce_config_selectorIfEEZNS1_11reduce_implILb1ES3_N6thrust23THRUST_200600_302600_NS11hip_rocprim26transform_input_iterator_tIfNS8_17counting_iteratorIiNS8_11use_defaultESC_SC_EE11estimate_piEEPffNS8_4plusIfEEEE10hipError_tPvRmT1_T2_T3_mT4_P12ihipStream_tbEUlT_E0_NS1_11comp_targetILNS1_3genE5ELNS1_11target_archE942ELNS1_3gpuE9ELNS1_3repE0EEENS1_30default_config_static_selectorELNS0_4arch9wavefront6targetE0EEEvSM_
		.amdhsa_group_segment_fixed_size 0
		.amdhsa_private_segment_fixed_size 0
		.amdhsa_kernarg_size 56
		.amdhsa_user_sgpr_count 2
		.amdhsa_user_sgpr_dispatch_ptr 0
		.amdhsa_user_sgpr_queue_ptr 0
		.amdhsa_user_sgpr_kernarg_segment_ptr 1
		.amdhsa_user_sgpr_dispatch_id 0
		.amdhsa_user_sgpr_kernarg_preload_length 0
		.amdhsa_user_sgpr_kernarg_preload_offset 0
		.amdhsa_user_sgpr_private_segment_size 0
		.amdhsa_wavefront_size32 1
		.amdhsa_uses_dynamic_stack 0
		.amdhsa_enable_private_segment 0
		.amdhsa_system_sgpr_workgroup_id_x 1
		.amdhsa_system_sgpr_workgroup_id_y 0
		.amdhsa_system_sgpr_workgroup_id_z 0
		.amdhsa_system_sgpr_workgroup_info 0
		.amdhsa_system_vgpr_workitem_id 0
		.amdhsa_next_free_vgpr 1
		.amdhsa_next_free_sgpr 1
		.amdhsa_named_barrier_count 0
		.amdhsa_reserve_vcc 0
		.amdhsa_float_round_mode_32 0
		.amdhsa_float_round_mode_16_64 0
		.amdhsa_float_denorm_mode_32 3
		.amdhsa_float_denorm_mode_16_64 3
		.amdhsa_fp16_overflow 0
		.amdhsa_memory_ordered 1
		.amdhsa_forward_progress 1
		.amdhsa_inst_pref_size 0
		.amdhsa_round_robin_scheduling 0
		.amdhsa_exception_fp_ieee_invalid_op 0
		.amdhsa_exception_fp_denorm_src 0
		.amdhsa_exception_fp_ieee_div_zero 0
		.amdhsa_exception_fp_ieee_overflow 0
		.amdhsa_exception_fp_ieee_underflow 0
		.amdhsa_exception_fp_ieee_inexact 0
		.amdhsa_exception_int_div_zero 0
	.end_amdhsa_kernel
	.section	.text._ZN7rocprim17ROCPRIM_400000_NS6detail17trampoline_kernelINS0_14default_configENS1_22reduce_config_selectorIfEEZNS1_11reduce_implILb1ES3_N6thrust23THRUST_200600_302600_NS11hip_rocprim26transform_input_iterator_tIfNS8_17counting_iteratorIiNS8_11use_defaultESC_SC_EE11estimate_piEEPffNS8_4plusIfEEEE10hipError_tPvRmT1_T2_T3_mT4_P12ihipStream_tbEUlT_E0_NS1_11comp_targetILNS1_3genE5ELNS1_11target_archE942ELNS1_3gpuE9ELNS1_3repE0EEENS1_30default_config_static_selectorELNS0_4arch9wavefront6targetE0EEEvSM_,"axG",@progbits,_ZN7rocprim17ROCPRIM_400000_NS6detail17trampoline_kernelINS0_14default_configENS1_22reduce_config_selectorIfEEZNS1_11reduce_implILb1ES3_N6thrust23THRUST_200600_302600_NS11hip_rocprim26transform_input_iterator_tIfNS8_17counting_iteratorIiNS8_11use_defaultESC_SC_EE11estimate_piEEPffNS8_4plusIfEEEE10hipError_tPvRmT1_T2_T3_mT4_P12ihipStream_tbEUlT_E0_NS1_11comp_targetILNS1_3genE5ELNS1_11target_archE942ELNS1_3gpuE9ELNS1_3repE0EEENS1_30default_config_static_selectorELNS0_4arch9wavefront6targetE0EEEvSM_,comdat
.Lfunc_end19:
	.size	_ZN7rocprim17ROCPRIM_400000_NS6detail17trampoline_kernelINS0_14default_configENS1_22reduce_config_selectorIfEEZNS1_11reduce_implILb1ES3_N6thrust23THRUST_200600_302600_NS11hip_rocprim26transform_input_iterator_tIfNS8_17counting_iteratorIiNS8_11use_defaultESC_SC_EE11estimate_piEEPffNS8_4plusIfEEEE10hipError_tPvRmT1_T2_T3_mT4_P12ihipStream_tbEUlT_E0_NS1_11comp_targetILNS1_3genE5ELNS1_11target_archE942ELNS1_3gpuE9ELNS1_3repE0EEENS1_30default_config_static_selectorELNS0_4arch9wavefront6targetE0EEEvSM_, .Lfunc_end19-_ZN7rocprim17ROCPRIM_400000_NS6detail17trampoline_kernelINS0_14default_configENS1_22reduce_config_selectorIfEEZNS1_11reduce_implILb1ES3_N6thrust23THRUST_200600_302600_NS11hip_rocprim26transform_input_iterator_tIfNS8_17counting_iteratorIiNS8_11use_defaultESC_SC_EE11estimate_piEEPffNS8_4plusIfEEEE10hipError_tPvRmT1_T2_T3_mT4_P12ihipStream_tbEUlT_E0_NS1_11comp_targetILNS1_3genE5ELNS1_11target_archE942ELNS1_3gpuE9ELNS1_3repE0EEENS1_30default_config_static_selectorELNS0_4arch9wavefront6targetE0EEEvSM_
                                        ; -- End function
	.set _ZN7rocprim17ROCPRIM_400000_NS6detail17trampoline_kernelINS0_14default_configENS1_22reduce_config_selectorIfEEZNS1_11reduce_implILb1ES3_N6thrust23THRUST_200600_302600_NS11hip_rocprim26transform_input_iterator_tIfNS8_17counting_iteratorIiNS8_11use_defaultESC_SC_EE11estimate_piEEPffNS8_4plusIfEEEE10hipError_tPvRmT1_T2_T3_mT4_P12ihipStream_tbEUlT_E0_NS1_11comp_targetILNS1_3genE5ELNS1_11target_archE942ELNS1_3gpuE9ELNS1_3repE0EEENS1_30default_config_static_selectorELNS0_4arch9wavefront6targetE0EEEvSM_.num_vgpr, 0
	.set _ZN7rocprim17ROCPRIM_400000_NS6detail17trampoline_kernelINS0_14default_configENS1_22reduce_config_selectorIfEEZNS1_11reduce_implILb1ES3_N6thrust23THRUST_200600_302600_NS11hip_rocprim26transform_input_iterator_tIfNS8_17counting_iteratorIiNS8_11use_defaultESC_SC_EE11estimate_piEEPffNS8_4plusIfEEEE10hipError_tPvRmT1_T2_T3_mT4_P12ihipStream_tbEUlT_E0_NS1_11comp_targetILNS1_3genE5ELNS1_11target_archE942ELNS1_3gpuE9ELNS1_3repE0EEENS1_30default_config_static_selectorELNS0_4arch9wavefront6targetE0EEEvSM_.num_agpr, 0
	.set _ZN7rocprim17ROCPRIM_400000_NS6detail17trampoline_kernelINS0_14default_configENS1_22reduce_config_selectorIfEEZNS1_11reduce_implILb1ES3_N6thrust23THRUST_200600_302600_NS11hip_rocprim26transform_input_iterator_tIfNS8_17counting_iteratorIiNS8_11use_defaultESC_SC_EE11estimate_piEEPffNS8_4plusIfEEEE10hipError_tPvRmT1_T2_T3_mT4_P12ihipStream_tbEUlT_E0_NS1_11comp_targetILNS1_3genE5ELNS1_11target_archE942ELNS1_3gpuE9ELNS1_3repE0EEENS1_30default_config_static_selectorELNS0_4arch9wavefront6targetE0EEEvSM_.numbered_sgpr, 0
	.set _ZN7rocprim17ROCPRIM_400000_NS6detail17trampoline_kernelINS0_14default_configENS1_22reduce_config_selectorIfEEZNS1_11reduce_implILb1ES3_N6thrust23THRUST_200600_302600_NS11hip_rocprim26transform_input_iterator_tIfNS8_17counting_iteratorIiNS8_11use_defaultESC_SC_EE11estimate_piEEPffNS8_4plusIfEEEE10hipError_tPvRmT1_T2_T3_mT4_P12ihipStream_tbEUlT_E0_NS1_11comp_targetILNS1_3genE5ELNS1_11target_archE942ELNS1_3gpuE9ELNS1_3repE0EEENS1_30default_config_static_selectorELNS0_4arch9wavefront6targetE0EEEvSM_.num_named_barrier, 0
	.set _ZN7rocprim17ROCPRIM_400000_NS6detail17trampoline_kernelINS0_14default_configENS1_22reduce_config_selectorIfEEZNS1_11reduce_implILb1ES3_N6thrust23THRUST_200600_302600_NS11hip_rocprim26transform_input_iterator_tIfNS8_17counting_iteratorIiNS8_11use_defaultESC_SC_EE11estimate_piEEPffNS8_4plusIfEEEE10hipError_tPvRmT1_T2_T3_mT4_P12ihipStream_tbEUlT_E0_NS1_11comp_targetILNS1_3genE5ELNS1_11target_archE942ELNS1_3gpuE9ELNS1_3repE0EEENS1_30default_config_static_selectorELNS0_4arch9wavefront6targetE0EEEvSM_.private_seg_size, 0
	.set _ZN7rocprim17ROCPRIM_400000_NS6detail17trampoline_kernelINS0_14default_configENS1_22reduce_config_selectorIfEEZNS1_11reduce_implILb1ES3_N6thrust23THRUST_200600_302600_NS11hip_rocprim26transform_input_iterator_tIfNS8_17counting_iteratorIiNS8_11use_defaultESC_SC_EE11estimate_piEEPffNS8_4plusIfEEEE10hipError_tPvRmT1_T2_T3_mT4_P12ihipStream_tbEUlT_E0_NS1_11comp_targetILNS1_3genE5ELNS1_11target_archE942ELNS1_3gpuE9ELNS1_3repE0EEENS1_30default_config_static_selectorELNS0_4arch9wavefront6targetE0EEEvSM_.uses_vcc, 0
	.set _ZN7rocprim17ROCPRIM_400000_NS6detail17trampoline_kernelINS0_14default_configENS1_22reduce_config_selectorIfEEZNS1_11reduce_implILb1ES3_N6thrust23THRUST_200600_302600_NS11hip_rocprim26transform_input_iterator_tIfNS8_17counting_iteratorIiNS8_11use_defaultESC_SC_EE11estimate_piEEPffNS8_4plusIfEEEE10hipError_tPvRmT1_T2_T3_mT4_P12ihipStream_tbEUlT_E0_NS1_11comp_targetILNS1_3genE5ELNS1_11target_archE942ELNS1_3gpuE9ELNS1_3repE0EEENS1_30default_config_static_selectorELNS0_4arch9wavefront6targetE0EEEvSM_.uses_flat_scratch, 0
	.set _ZN7rocprim17ROCPRIM_400000_NS6detail17trampoline_kernelINS0_14default_configENS1_22reduce_config_selectorIfEEZNS1_11reduce_implILb1ES3_N6thrust23THRUST_200600_302600_NS11hip_rocprim26transform_input_iterator_tIfNS8_17counting_iteratorIiNS8_11use_defaultESC_SC_EE11estimate_piEEPffNS8_4plusIfEEEE10hipError_tPvRmT1_T2_T3_mT4_P12ihipStream_tbEUlT_E0_NS1_11comp_targetILNS1_3genE5ELNS1_11target_archE942ELNS1_3gpuE9ELNS1_3repE0EEENS1_30default_config_static_selectorELNS0_4arch9wavefront6targetE0EEEvSM_.has_dyn_sized_stack, 0
	.set _ZN7rocprim17ROCPRIM_400000_NS6detail17trampoline_kernelINS0_14default_configENS1_22reduce_config_selectorIfEEZNS1_11reduce_implILb1ES3_N6thrust23THRUST_200600_302600_NS11hip_rocprim26transform_input_iterator_tIfNS8_17counting_iteratorIiNS8_11use_defaultESC_SC_EE11estimate_piEEPffNS8_4plusIfEEEE10hipError_tPvRmT1_T2_T3_mT4_P12ihipStream_tbEUlT_E0_NS1_11comp_targetILNS1_3genE5ELNS1_11target_archE942ELNS1_3gpuE9ELNS1_3repE0EEENS1_30default_config_static_selectorELNS0_4arch9wavefront6targetE0EEEvSM_.has_recursion, 0
	.set _ZN7rocprim17ROCPRIM_400000_NS6detail17trampoline_kernelINS0_14default_configENS1_22reduce_config_selectorIfEEZNS1_11reduce_implILb1ES3_N6thrust23THRUST_200600_302600_NS11hip_rocprim26transform_input_iterator_tIfNS8_17counting_iteratorIiNS8_11use_defaultESC_SC_EE11estimate_piEEPffNS8_4plusIfEEEE10hipError_tPvRmT1_T2_T3_mT4_P12ihipStream_tbEUlT_E0_NS1_11comp_targetILNS1_3genE5ELNS1_11target_archE942ELNS1_3gpuE9ELNS1_3repE0EEENS1_30default_config_static_selectorELNS0_4arch9wavefront6targetE0EEEvSM_.has_indirect_call, 0
	.section	.AMDGPU.csdata,"",@progbits
; Kernel info:
; codeLenInByte = 0
; TotalNumSgprs: 0
; NumVgprs: 0
; ScratchSize: 0
; MemoryBound: 0
; FloatMode: 240
; IeeeMode: 1
; LDSByteSize: 0 bytes/workgroup (compile time only)
; SGPRBlocks: 0
; VGPRBlocks: 0
; NumSGPRsForWavesPerEU: 1
; NumVGPRsForWavesPerEU: 1
; NamedBarCnt: 0
; Occupancy: 16
; WaveLimiterHint : 0
; COMPUTE_PGM_RSRC2:SCRATCH_EN: 0
; COMPUTE_PGM_RSRC2:USER_SGPR: 2
; COMPUTE_PGM_RSRC2:TRAP_HANDLER: 0
; COMPUTE_PGM_RSRC2:TGID_X_EN: 1
; COMPUTE_PGM_RSRC2:TGID_Y_EN: 0
; COMPUTE_PGM_RSRC2:TGID_Z_EN: 0
; COMPUTE_PGM_RSRC2:TIDIG_COMP_CNT: 0
	.section	.text._ZN7rocprim17ROCPRIM_400000_NS6detail17trampoline_kernelINS0_14default_configENS1_22reduce_config_selectorIfEEZNS1_11reduce_implILb1ES3_N6thrust23THRUST_200600_302600_NS11hip_rocprim26transform_input_iterator_tIfNS8_17counting_iteratorIiNS8_11use_defaultESC_SC_EE11estimate_piEEPffNS8_4plusIfEEEE10hipError_tPvRmT1_T2_T3_mT4_P12ihipStream_tbEUlT_E0_NS1_11comp_targetILNS1_3genE4ELNS1_11target_archE910ELNS1_3gpuE8ELNS1_3repE0EEENS1_30default_config_static_selectorELNS0_4arch9wavefront6targetE0EEEvSM_,"axG",@progbits,_ZN7rocprim17ROCPRIM_400000_NS6detail17trampoline_kernelINS0_14default_configENS1_22reduce_config_selectorIfEEZNS1_11reduce_implILb1ES3_N6thrust23THRUST_200600_302600_NS11hip_rocprim26transform_input_iterator_tIfNS8_17counting_iteratorIiNS8_11use_defaultESC_SC_EE11estimate_piEEPffNS8_4plusIfEEEE10hipError_tPvRmT1_T2_T3_mT4_P12ihipStream_tbEUlT_E0_NS1_11comp_targetILNS1_3genE4ELNS1_11target_archE910ELNS1_3gpuE8ELNS1_3repE0EEENS1_30default_config_static_selectorELNS0_4arch9wavefront6targetE0EEEvSM_,comdat
	.protected	_ZN7rocprim17ROCPRIM_400000_NS6detail17trampoline_kernelINS0_14default_configENS1_22reduce_config_selectorIfEEZNS1_11reduce_implILb1ES3_N6thrust23THRUST_200600_302600_NS11hip_rocprim26transform_input_iterator_tIfNS8_17counting_iteratorIiNS8_11use_defaultESC_SC_EE11estimate_piEEPffNS8_4plusIfEEEE10hipError_tPvRmT1_T2_T3_mT4_P12ihipStream_tbEUlT_E0_NS1_11comp_targetILNS1_3genE4ELNS1_11target_archE910ELNS1_3gpuE8ELNS1_3repE0EEENS1_30default_config_static_selectorELNS0_4arch9wavefront6targetE0EEEvSM_ ; -- Begin function _ZN7rocprim17ROCPRIM_400000_NS6detail17trampoline_kernelINS0_14default_configENS1_22reduce_config_selectorIfEEZNS1_11reduce_implILb1ES3_N6thrust23THRUST_200600_302600_NS11hip_rocprim26transform_input_iterator_tIfNS8_17counting_iteratorIiNS8_11use_defaultESC_SC_EE11estimate_piEEPffNS8_4plusIfEEEE10hipError_tPvRmT1_T2_T3_mT4_P12ihipStream_tbEUlT_E0_NS1_11comp_targetILNS1_3genE4ELNS1_11target_archE910ELNS1_3gpuE8ELNS1_3repE0EEENS1_30default_config_static_selectorELNS0_4arch9wavefront6targetE0EEEvSM_
	.globl	_ZN7rocprim17ROCPRIM_400000_NS6detail17trampoline_kernelINS0_14default_configENS1_22reduce_config_selectorIfEEZNS1_11reduce_implILb1ES3_N6thrust23THRUST_200600_302600_NS11hip_rocprim26transform_input_iterator_tIfNS8_17counting_iteratorIiNS8_11use_defaultESC_SC_EE11estimate_piEEPffNS8_4plusIfEEEE10hipError_tPvRmT1_T2_T3_mT4_P12ihipStream_tbEUlT_E0_NS1_11comp_targetILNS1_3genE4ELNS1_11target_archE910ELNS1_3gpuE8ELNS1_3repE0EEENS1_30default_config_static_selectorELNS0_4arch9wavefront6targetE0EEEvSM_
	.p2align	8
	.type	_ZN7rocprim17ROCPRIM_400000_NS6detail17trampoline_kernelINS0_14default_configENS1_22reduce_config_selectorIfEEZNS1_11reduce_implILb1ES3_N6thrust23THRUST_200600_302600_NS11hip_rocprim26transform_input_iterator_tIfNS8_17counting_iteratorIiNS8_11use_defaultESC_SC_EE11estimate_piEEPffNS8_4plusIfEEEE10hipError_tPvRmT1_T2_T3_mT4_P12ihipStream_tbEUlT_E0_NS1_11comp_targetILNS1_3genE4ELNS1_11target_archE910ELNS1_3gpuE8ELNS1_3repE0EEENS1_30default_config_static_selectorELNS0_4arch9wavefront6targetE0EEEvSM_,@function
_ZN7rocprim17ROCPRIM_400000_NS6detail17trampoline_kernelINS0_14default_configENS1_22reduce_config_selectorIfEEZNS1_11reduce_implILb1ES3_N6thrust23THRUST_200600_302600_NS11hip_rocprim26transform_input_iterator_tIfNS8_17counting_iteratorIiNS8_11use_defaultESC_SC_EE11estimate_piEEPffNS8_4plusIfEEEE10hipError_tPvRmT1_T2_T3_mT4_P12ihipStream_tbEUlT_E0_NS1_11comp_targetILNS1_3genE4ELNS1_11target_archE910ELNS1_3gpuE8ELNS1_3repE0EEENS1_30default_config_static_selectorELNS0_4arch9wavefront6targetE0EEEvSM_: ; @_ZN7rocprim17ROCPRIM_400000_NS6detail17trampoline_kernelINS0_14default_configENS1_22reduce_config_selectorIfEEZNS1_11reduce_implILb1ES3_N6thrust23THRUST_200600_302600_NS11hip_rocprim26transform_input_iterator_tIfNS8_17counting_iteratorIiNS8_11use_defaultESC_SC_EE11estimate_piEEPffNS8_4plusIfEEEE10hipError_tPvRmT1_T2_T3_mT4_P12ihipStream_tbEUlT_E0_NS1_11comp_targetILNS1_3genE4ELNS1_11target_archE910ELNS1_3gpuE8ELNS1_3repE0EEENS1_30default_config_static_selectorELNS0_4arch9wavefront6targetE0EEEvSM_
; %bb.0:
	.section	.rodata,"a",@progbits
	.p2align	6, 0x0
	.amdhsa_kernel _ZN7rocprim17ROCPRIM_400000_NS6detail17trampoline_kernelINS0_14default_configENS1_22reduce_config_selectorIfEEZNS1_11reduce_implILb1ES3_N6thrust23THRUST_200600_302600_NS11hip_rocprim26transform_input_iterator_tIfNS8_17counting_iteratorIiNS8_11use_defaultESC_SC_EE11estimate_piEEPffNS8_4plusIfEEEE10hipError_tPvRmT1_T2_T3_mT4_P12ihipStream_tbEUlT_E0_NS1_11comp_targetILNS1_3genE4ELNS1_11target_archE910ELNS1_3gpuE8ELNS1_3repE0EEENS1_30default_config_static_selectorELNS0_4arch9wavefront6targetE0EEEvSM_
		.amdhsa_group_segment_fixed_size 0
		.amdhsa_private_segment_fixed_size 0
		.amdhsa_kernarg_size 56
		.amdhsa_user_sgpr_count 2
		.amdhsa_user_sgpr_dispatch_ptr 0
		.amdhsa_user_sgpr_queue_ptr 0
		.amdhsa_user_sgpr_kernarg_segment_ptr 1
		.amdhsa_user_sgpr_dispatch_id 0
		.amdhsa_user_sgpr_kernarg_preload_length 0
		.amdhsa_user_sgpr_kernarg_preload_offset 0
		.amdhsa_user_sgpr_private_segment_size 0
		.amdhsa_wavefront_size32 1
		.amdhsa_uses_dynamic_stack 0
		.amdhsa_enable_private_segment 0
		.amdhsa_system_sgpr_workgroup_id_x 1
		.amdhsa_system_sgpr_workgroup_id_y 0
		.amdhsa_system_sgpr_workgroup_id_z 0
		.amdhsa_system_sgpr_workgroup_info 0
		.amdhsa_system_vgpr_workitem_id 0
		.amdhsa_next_free_vgpr 1
		.amdhsa_next_free_sgpr 1
		.amdhsa_named_barrier_count 0
		.amdhsa_reserve_vcc 0
		.amdhsa_float_round_mode_32 0
		.amdhsa_float_round_mode_16_64 0
		.amdhsa_float_denorm_mode_32 3
		.amdhsa_float_denorm_mode_16_64 3
		.amdhsa_fp16_overflow 0
		.amdhsa_memory_ordered 1
		.amdhsa_forward_progress 1
		.amdhsa_inst_pref_size 0
		.amdhsa_round_robin_scheduling 0
		.amdhsa_exception_fp_ieee_invalid_op 0
		.amdhsa_exception_fp_denorm_src 0
		.amdhsa_exception_fp_ieee_div_zero 0
		.amdhsa_exception_fp_ieee_overflow 0
		.amdhsa_exception_fp_ieee_underflow 0
		.amdhsa_exception_fp_ieee_inexact 0
		.amdhsa_exception_int_div_zero 0
	.end_amdhsa_kernel
	.section	.text._ZN7rocprim17ROCPRIM_400000_NS6detail17trampoline_kernelINS0_14default_configENS1_22reduce_config_selectorIfEEZNS1_11reduce_implILb1ES3_N6thrust23THRUST_200600_302600_NS11hip_rocprim26transform_input_iterator_tIfNS8_17counting_iteratorIiNS8_11use_defaultESC_SC_EE11estimate_piEEPffNS8_4plusIfEEEE10hipError_tPvRmT1_T2_T3_mT4_P12ihipStream_tbEUlT_E0_NS1_11comp_targetILNS1_3genE4ELNS1_11target_archE910ELNS1_3gpuE8ELNS1_3repE0EEENS1_30default_config_static_selectorELNS0_4arch9wavefront6targetE0EEEvSM_,"axG",@progbits,_ZN7rocprim17ROCPRIM_400000_NS6detail17trampoline_kernelINS0_14default_configENS1_22reduce_config_selectorIfEEZNS1_11reduce_implILb1ES3_N6thrust23THRUST_200600_302600_NS11hip_rocprim26transform_input_iterator_tIfNS8_17counting_iteratorIiNS8_11use_defaultESC_SC_EE11estimate_piEEPffNS8_4plusIfEEEE10hipError_tPvRmT1_T2_T3_mT4_P12ihipStream_tbEUlT_E0_NS1_11comp_targetILNS1_3genE4ELNS1_11target_archE910ELNS1_3gpuE8ELNS1_3repE0EEENS1_30default_config_static_selectorELNS0_4arch9wavefront6targetE0EEEvSM_,comdat
.Lfunc_end20:
	.size	_ZN7rocprim17ROCPRIM_400000_NS6detail17trampoline_kernelINS0_14default_configENS1_22reduce_config_selectorIfEEZNS1_11reduce_implILb1ES3_N6thrust23THRUST_200600_302600_NS11hip_rocprim26transform_input_iterator_tIfNS8_17counting_iteratorIiNS8_11use_defaultESC_SC_EE11estimate_piEEPffNS8_4plusIfEEEE10hipError_tPvRmT1_T2_T3_mT4_P12ihipStream_tbEUlT_E0_NS1_11comp_targetILNS1_3genE4ELNS1_11target_archE910ELNS1_3gpuE8ELNS1_3repE0EEENS1_30default_config_static_selectorELNS0_4arch9wavefront6targetE0EEEvSM_, .Lfunc_end20-_ZN7rocprim17ROCPRIM_400000_NS6detail17trampoline_kernelINS0_14default_configENS1_22reduce_config_selectorIfEEZNS1_11reduce_implILb1ES3_N6thrust23THRUST_200600_302600_NS11hip_rocprim26transform_input_iterator_tIfNS8_17counting_iteratorIiNS8_11use_defaultESC_SC_EE11estimate_piEEPffNS8_4plusIfEEEE10hipError_tPvRmT1_T2_T3_mT4_P12ihipStream_tbEUlT_E0_NS1_11comp_targetILNS1_3genE4ELNS1_11target_archE910ELNS1_3gpuE8ELNS1_3repE0EEENS1_30default_config_static_selectorELNS0_4arch9wavefront6targetE0EEEvSM_
                                        ; -- End function
	.set _ZN7rocprim17ROCPRIM_400000_NS6detail17trampoline_kernelINS0_14default_configENS1_22reduce_config_selectorIfEEZNS1_11reduce_implILb1ES3_N6thrust23THRUST_200600_302600_NS11hip_rocprim26transform_input_iterator_tIfNS8_17counting_iteratorIiNS8_11use_defaultESC_SC_EE11estimate_piEEPffNS8_4plusIfEEEE10hipError_tPvRmT1_T2_T3_mT4_P12ihipStream_tbEUlT_E0_NS1_11comp_targetILNS1_3genE4ELNS1_11target_archE910ELNS1_3gpuE8ELNS1_3repE0EEENS1_30default_config_static_selectorELNS0_4arch9wavefront6targetE0EEEvSM_.num_vgpr, 0
	.set _ZN7rocprim17ROCPRIM_400000_NS6detail17trampoline_kernelINS0_14default_configENS1_22reduce_config_selectorIfEEZNS1_11reduce_implILb1ES3_N6thrust23THRUST_200600_302600_NS11hip_rocprim26transform_input_iterator_tIfNS8_17counting_iteratorIiNS8_11use_defaultESC_SC_EE11estimate_piEEPffNS8_4plusIfEEEE10hipError_tPvRmT1_T2_T3_mT4_P12ihipStream_tbEUlT_E0_NS1_11comp_targetILNS1_3genE4ELNS1_11target_archE910ELNS1_3gpuE8ELNS1_3repE0EEENS1_30default_config_static_selectorELNS0_4arch9wavefront6targetE0EEEvSM_.num_agpr, 0
	.set _ZN7rocprim17ROCPRIM_400000_NS6detail17trampoline_kernelINS0_14default_configENS1_22reduce_config_selectorIfEEZNS1_11reduce_implILb1ES3_N6thrust23THRUST_200600_302600_NS11hip_rocprim26transform_input_iterator_tIfNS8_17counting_iteratorIiNS8_11use_defaultESC_SC_EE11estimate_piEEPffNS8_4plusIfEEEE10hipError_tPvRmT1_T2_T3_mT4_P12ihipStream_tbEUlT_E0_NS1_11comp_targetILNS1_3genE4ELNS1_11target_archE910ELNS1_3gpuE8ELNS1_3repE0EEENS1_30default_config_static_selectorELNS0_4arch9wavefront6targetE0EEEvSM_.numbered_sgpr, 0
	.set _ZN7rocprim17ROCPRIM_400000_NS6detail17trampoline_kernelINS0_14default_configENS1_22reduce_config_selectorIfEEZNS1_11reduce_implILb1ES3_N6thrust23THRUST_200600_302600_NS11hip_rocprim26transform_input_iterator_tIfNS8_17counting_iteratorIiNS8_11use_defaultESC_SC_EE11estimate_piEEPffNS8_4plusIfEEEE10hipError_tPvRmT1_T2_T3_mT4_P12ihipStream_tbEUlT_E0_NS1_11comp_targetILNS1_3genE4ELNS1_11target_archE910ELNS1_3gpuE8ELNS1_3repE0EEENS1_30default_config_static_selectorELNS0_4arch9wavefront6targetE0EEEvSM_.num_named_barrier, 0
	.set _ZN7rocprim17ROCPRIM_400000_NS6detail17trampoline_kernelINS0_14default_configENS1_22reduce_config_selectorIfEEZNS1_11reduce_implILb1ES3_N6thrust23THRUST_200600_302600_NS11hip_rocprim26transform_input_iterator_tIfNS8_17counting_iteratorIiNS8_11use_defaultESC_SC_EE11estimate_piEEPffNS8_4plusIfEEEE10hipError_tPvRmT1_T2_T3_mT4_P12ihipStream_tbEUlT_E0_NS1_11comp_targetILNS1_3genE4ELNS1_11target_archE910ELNS1_3gpuE8ELNS1_3repE0EEENS1_30default_config_static_selectorELNS0_4arch9wavefront6targetE0EEEvSM_.private_seg_size, 0
	.set _ZN7rocprim17ROCPRIM_400000_NS6detail17trampoline_kernelINS0_14default_configENS1_22reduce_config_selectorIfEEZNS1_11reduce_implILb1ES3_N6thrust23THRUST_200600_302600_NS11hip_rocprim26transform_input_iterator_tIfNS8_17counting_iteratorIiNS8_11use_defaultESC_SC_EE11estimate_piEEPffNS8_4plusIfEEEE10hipError_tPvRmT1_T2_T3_mT4_P12ihipStream_tbEUlT_E0_NS1_11comp_targetILNS1_3genE4ELNS1_11target_archE910ELNS1_3gpuE8ELNS1_3repE0EEENS1_30default_config_static_selectorELNS0_4arch9wavefront6targetE0EEEvSM_.uses_vcc, 0
	.set _ZN7rocprim17ROCPRIM_400000_NS6detail17trampoline_kernelINS0_14default_configENS1_22reduce_config_selectorIfEEZNS1_11reduce_implILb1ES3_N6thrust23THRUST_200600_302600_NS11hip_rocprim26transform_input_iterator_tIfNS8_17counting_iteratorIiNS8_11use_defaultESC_SC_EE11estimate_piEEPffNS8_4plusIfEEEE10hipError_tPvRmT1_T2_T3_mT4_P12ihipStream_tbEUlT_E0_NS1_11comp_targetILNS1_3genE4ELNS1_11target_archE910ELNS1_3gpuE8ELNS1_3repE0EEENS1_30default_config_static_selectorELNS0_4arch9wavefront6targetE0EEEvSM_.uses_flat_scratch, 0
	.set _ZN7rocprim17ROCPRIM_400000_NS6detail17trampoline_kernelINS0_14default_configENS1_22reduce_config_selectorIfEEZNS1_11reduce_implILb1ES3_N6thrust23THRUST_200600_302600_NS11hip_rocprim26transform_input_iterator_tIfNS8_17counting_iteratorIiNS8_11use_defaultESC_SC_EE11estimate_piEEPffNS8_4plusIfEEEE10hipError_tPvRmT1_T2_T3_mT4_P12ihipStream_tbEUlT_E0_NS1_11comp_targetILNS1_3genE4ELNS1_11target_archE910ELNS1_3gpuE8ELNS1_3repE0EEENS1_30default_config_static_selectorELNS0_4arch9wavefront6targetE0EEEvSM_.has_dyn_sized_stack, 0
	.set _ZN7rocprim17ROCPRIM_400000_NS6detail17trampoline_kernelINS0_14default_configENS1_22reduce_config_selectorIfEEZNS1_11reduce_implILb1ES3_N6thrust23THRUST_200600_302600_NS11hip_rocprim26transform_input_iterator_tIfNS8_17counting_iteratorIiNS8_11use_defaultESC_SC_EE11estimate_piEEPffNS8_4plusIfEEEE10hipError_tPvRmT1_T2_T3_mT4_P12ihipStream_tbEUlT_E0_NS1_11comp_targetILNS1_3genE4ELNS1_11target_archE910ELNS1_3gpuE8ELNS1_3repE0EEENS1_30default_config_static_selectorELNS0_4arch9wavefront6targetE0EEEvSM_.has_recursion, 0
	.set _ZN7rocprim17ROCPRIM_400000_NS6detail17trampoline_kernelINS0_14default_configENS1_22reduce_config_selectorIfEEZNS1_11reduce_implILb1ES3_N6thrust23THRUST_200600_302600_NS11hip_rocprim26transform_input_iterator_tIfNS8_17counting_iteratorIiNS8_11use_defaultESC_SC_EE11estimate_piEEPffNS8_4plusIfEEEE10hipError_tPvRmT1_T2_T3_mT4_P12ihipStream_tbEUlT_E0_NS1_11comp_targetILNS1_3genE4ELNS1_11target_archE910ELNS1_3gpuE8ELNS1_3repE0EEENS1_30default_config_static_selectorELNS0_4arch9wavefront6targetE0EEEvSM_.has_indirect_call, 0
	.section	.AMDGPU.csdata,"",@progbits
; Kernel info:
; codeLenInByte = 0
; TotalNumSgprs: 0
; NumVgprs: 0
; ScratchSize: 0
; MemoryBound: 0
; FloatMode: 240
; IeeeMode: 1
; LDSByteSize: 0 bytes/workgroup (compile time only)
; SGPRBlocks: 0
; VGPRBlocks: 0
; NumSGPRsForWavesPerEU: 1
; NumVGPRsForWavesPerEU: 1
; NamedBarCnt: 0
; Occupancy: 16
; WaveLimiterHint : 0
; COMPUTE_PGM_RSRC2:SCRATCH_EN: 0
; COMPUTE_PGM_RSRC2:USER_SGPR: 2
; COMPUTE_PGM_RSRC2:TRAP_HANDLER: 0
; COMPUTE_PGM_RSRC2:TGID_X_EN: 1
; COMPUTE_PGM_RSRC2:TGID_Y_EN: 0
; COMPUTE_PGM_RSRC2:TGID_Z_EN: 0
; COMPUTE_PGM_RSRC2:TIDIG_COMP_CNT: 0
	.section	.text._ZN7rocprim17ROCPRIM_400000_NS6detail17trampoline_kernelINS0_14default_configENS1_22reduce_config_selectorIfEEZNS1_11reduce_implILb1ES3_N6thrust23THRUST_200600_302600_NS11hip_rocprim26transform_input_iterator_tIfNS8_17counting_iteratorIiNS8_11use_defaultESC_SC_EE11estimate_piEEPffNS8_4plusIfEEEE10hipError_tPvRmT1_T2_T3_mT4_P12ihipStream_tbEUlT_E0_NS1_11comp_targetILNS1_3genE3ELNS1_11target_archE908ELNS1_3gpuE7ELNS1_3repE0EEENS1_30default_config_static_selectorELNS0_4arch9wavefront6targetE0EEEvSM_,"axG",@progbits,_ZN7rocprim17ROCPRIM_400000_NS6detail17trampoline_kernelINS0_14default_configENS1_22reduce_config_selectorIfEEZNS1_11reduce_implILb1ES3_N6thrust23THRUST_200600_302600_NS11hip_rocprim26transform_input_iterator_tIfNS8_17counting_iteratorIiNS8_11use_defaultESC_SC_EE11estimate_piEEPffNS8_4plusIfEEEE10hipError_tPvRmT1_T2_T3_mT4_P12ihipStream_tbEUlT_E0_NS1_11comp_targetILNS1_3genE3ELNS1_11target_archE908ELNS1_3gpuE7ELNS1_3repE0EEENS1_30default_config_static_selectorELNS0_4arch9wavefront6targetE0EEEvSM_,comdat
	.protected	_ZN7rocprim17ROCPRIM_400000_NS6detail17trampoline_kernelINS0_14default_configENS1_22reduce_config_selectorIfEEZNS1_11reduce_implILb1ES3_N6thrust23THRUST_200600_302600_NS11hip_rocprim26transform_input_iterator_tIfNS8_17counting_iteratorIiNS8_11use_defaultESC_SC_EE11estimate_piEEPffNS8_4plusIfEEEE10hipError_tPvRmT1_T2_T3_mT4_P12ihipStream_tbEUlT_E0_NS1_11comp_targetILNS1_3genE3ELNS1_11target_archE908ELNS1_3gpuE7ELNS1_3repE0EEENS1_30default_config_static_selectorELNS0_4arch9wavefront6targetE0EEEvSM_ ; -- Begin function _ZN7rocprim17ROCPRIM_400000_NS6detail17trampoline_kernelINS0_14default_configENS1_22reduce_config_selectorIfEEZNS1_11reduce_implILb1ES3_N6thrust23THRUST_200600_302600_NS11hip_rocprim26transform_input_iterator_tIfNS8_17counting_iteratorIiNS8_11use_defaultESC_SC_EE11estimate_piEEPffNS8_4plusIfEEEE10hipError_tPvRmT1_T2_T3_mT4_P12ihipStream_tbEUlT_E0_NS1_11comp_targetILNS1_3genE3ELNS1_11target_archE908ELNS1_3gpuE7ELNS1_3repE0EEENS1_30default_config_static_selectorELNS0_4arch9wavefront6targetE0EEEvSM_
	.globl	_ZN7rocprim17ROCPRIM_400000_NS6detail17trampoline_kernelINS0_14default_configENS1_22reduce_config_selectorIfEEZNS1_11reduce_implILb1ES3_N6thrust23THRUST_200600_302600_NS11hip_rocprim26transform_input_iterator_tIfNS8_17counting_iteratorIiNS8_11use_defaultESC_SC_EE11estimate_piEEPffNS8_4plusIfEEEE10hipError_tPvRmT1_T2_T3_mT4_P12ihipStream_tbEUlT_E0_NS1_11comp_targetILNS1_3genE3ELNS1_11target_archE908ELNS1_3gpuE7ELNS1_3repE0EEENS1_30default_config_static_selectorELNS0_4arch9wavefront6targetE0EEEvSM_
	.p2align	8
	.type	_ZN7rocprim17ROCPRIM_400000_NS6detail17trampoline_kernelINS0_14default_configENS1_22reduce_config_selectorIfEEZNS1_11reduce_implILb1ES3_N6thrust23THRUST_200600_302600_NS11hip_rocprim26transform_input_iterator_tIfNS8_17counting_iteratorIiNS8_11use_defaultESC_SC_EE11estimate_piEEPffNS8_4plusIfEEEE10hipError_tPvRmT1_T2_T3_mT4_P12ihipStream_tbEUlT_E0_NS1_11comp_targetILNS1_3genE3ELNS1_11target_archE908ELNS1_3gpuE7ELNS1_3repE0EEENS1_30default_config_static_selectorELNS0_4arch9wavefront6targetE0EEEvSM_,@function
_ZN7rocprim17ROCPRIM_400000_NS6detail17trampoline_kernelINS0_14default_configENS1_22reduce_config_selectorIfEEZNS1_11reduce_implILb1ES3_N6thrust23THRUST_200600_302600_NS11hip_rocprim26transform_input_iterator_tIfNS8_17counting_iteratorIiNS8_11use_defaultESC_SC_EE11estimate_piEEPffNS8_4plusIfEEEE10hipError_tPvRmT1_T2_T3_mT4_P12ihipStream_tbEUlT_E0_NS1_11comp_targetILNS1_3genE3ELNS1_11target_archE908ELNS1_3gpuE7ELNS1_3repE0EEENS1_30default_config_static_selectorELNS0_4arch9wavefront6targetE0EEEvSM_: ; @_ZN7rocprim17ROCPRIM_400000_NS6detail17trampoline_kernelINS0_14default_configENS1_22reduce_config_selectorIfEEZNS1_11reduce_implILb1ES3_N6thrust23THRUST_200600_302600_NS11hip_rocprim26transform_input_iterator_tIfNS8_17counting_iteratorIiNS8_11use_defaultESC_SC_EE11estimate_piEEPffNS8_4plusIfEEEE10hipError_tPvRmT1_T2_T3_mT4_P12ihipStream_tbEUlT_E0_NS1_11comp_targetILNS1_3genE3ELNS1_11target_archE908ELNS1_3gpuE7ELNS1_3repE0EEENS1_30default_config_static_selectorELNS0_4arch9wavefront6targetE0EEEvSM_
; %bb.0:
	.section	.rodata,"a",@progbits
	.p2align	6, 0x0
	.amdhsa_kernel _ZN7rocprim17ROCPRIM_400000_NS6detail17trampoline_kernelINS0_14default_configENS1_22reduce_config_selectorIfEEZNS1_11reduce_implILb1ES3_N6thrust23THRUST_200600_302600_NS11hip_rocprim26transform_input_iterator_tIfNS8_17counting_iteratorIiNS8_11use_defaultESC_SC_EE11estimate_piEEPffNS8_4plusIfEEEE10hipError_tPvRmT1_T2_T3_mT4_P12ihipStream_tbEUlT_E0_NS1_11comp_targetILNS1_3genE3ELNS1_11target_archE908ELNS1_3gpuE7ELNS1_3repE0EEENS1_30default_config_static_selectorELNS0_4arch9wavefront6targetE0EEEvSM_
		.amdhsa_group_segment_fixed_size 0
		.amdhsa_private_segment_fixed_size 0
		.amdhsa_kernarg_size 56
		.amdhsa_user_sgpr_count 2
		.amdhsa_user_sgpr_dispatch_ptr 0
		.amdhsa_user_sgpr_queue_ptr 0
		.amdhsa_user_sgpr_kernarg_segment_ptr 1
		.amdhsa_user_sgpr_dispatch_id 0
		.amdhsa_user_sgpr_kernarg_preload_length 0
		.amdhsa_user_sgpr_kernarg_preload_offset 0
		.amdhsa_user_sgpr_private_segment_size 0
		.amdhsa_wavefront_size32 1
		.amdhsa_uses_dynamic_stack 0
		.amdhsa_enable_private_segment 0
		.amdhsa_system_sgpr_workgroup_id_x 1
		.amdhsa_system_sgpr_workgroup_id_y 0
		.amdhsa_system_sgpr_workgroup_id_z 0
		.amdhsa_system_sgpr_workgroup_info 0
		.amdhsa_system_vgpr_workitem_id 0
		.amdhsa_next_free_vgpr 1
		.amdhsa_next_free_sgpr 1
		.amdhsa_named_barrier_count 0
		.amdhsa_reserve_vcc 0
		.amdhsa_float_round_mode_32 0
		.amdhsa_float_round_mode_16_64 0
		.amdhsa_float_denorm_mode_32 3
		.amdhsa_float_denorm_mode_16_64 3
		.amdhsa_fp16_overflow 0
		.amdhsa_memory_ordered 1
		.amdhsa_forward_progress 1
		.amdhsa_inst_pref_size 0
		.amdhsa_round_robin_scheduling 0
		.amdhsa_exception_fp_ieee_invalid_op 0
		.amdhsa_exception_fp_denorm_src 0
		.amdhsa_exception_fp_ieee_div_zero 0
		.amdhsa_exception_fp_ieee_overflow 0
		.amdhsa_exception_fp_ieee_underflow 0
		.amdhsa_exception_fp_ieee_inexact 0
		.amdhsa_exception_int_div_zero 0
	.end_amdhsa_kernel
	.section	.text._ZN7rocprim17ROCPRIM_400000_NS6detail17trampoline_kernelINS0_14default_configENS1_22reduce_config_selectorIfEEZNS1_11reduce_implILb1ES3_N6thrust23THRUST_200600_302600_NS11hip_rocprim26transform_input_iterator_tIfNS8_17counting_iteratorIiNS8_11use_defaultESC_SC_EE11estimate_piEEPffNS8_4plusIfEEEE10hipError_tPvRmT1_T2_T3_mT4_P12ihipStream_tbEUlT_E0_NS1_11comp_targetILNS1_3genE3ELNS1_11target_archE908ELNS1_3gpuE7ELNS1_3repE0EEENS1_30default_config_static_selectorELNS0_4arch9wavefront6targetE0EEEvSM_,"axG",@progbits,_ZN7rocprim17ROCPRIM_400000_NS6detail17trampoline_kernelINS0_14default_configENS1_22reduce_config_selectorIfEEZNS1_11reduce_implILb1ES3_N6thrust23THRUST_200600_302600_NS11hip_rocprim26transform_input_iterator_tIfNS8_17counting_iteratorIiNS8_11use_defaultESC_SC_EE11estimate_piEEPffNS8_4plusIfEEEE10hipError_tPvRmT1_T2_T3_mT4_P12ihipStream_tbEUlT_E0_NS1_11comp_targetILNS1_3genE3ELNS1_11target_archE908ELNS1_3gpuE7ELNS1_3repE0EEENS1_30default_config_static_selectorELNS0_4arch9wavefront6targetE0EEEvSM_,comdat
.Lfunc_end21:
	.size	_ZN7rocprim17ROCPRIM_400000_NS6detail17trampoline_kernelINS0_14default_configENS1_22reduce_config_selectorIfEEZNS1_11reduce_implILb1ES3_N6thrust23THRUST_200600_302600_NS11hip_rocprim26transform_input_iterator_tIfNS8_17counting_iteratorIiNS8_11use_defaultESC_SC_EE11estimate_piEEPffNS8_4plusIfEEEE10hipError_tPvRmT1_T2_T3_mT4_P12ihipStream_tbEUlT_E0_NS1_11comp_targetILNS1_3genE3ELNS1_11target_archE908ELNS1_3gpuE7ELNS1_3repE0EEENS1_30default_config_static_selectorELNS0_4arch9wavefront6targetE0EEEvSM_, .Lfunc_end21-_ZN7rocprim17ROCPRIM_400000_NS6detail17trampoline_kernelINS0_14default_configENS1_22reduce_config_selectorIfEEZNS1_11reduce_implILb1ES3_N6thrust23THRUST_200600_302600_NS11hip_rocprim26transform_input_iterator_tIfNS8_17counting_iteratorIiNS8_11use_defaultESC_SC_EE11estimate_piEEPffNS8_4plusIfEEEE10hipError_tPvRmT1_T2_T3_mT4_P12ihipStream_tbEUlT_E0_NS1_11comp_targetILNS1_3genE3ELNS1_11target_archE908ELNS1_3gpuE7ELNS1_3repE0EEENS1_30default_config_static_selectorELNS0_4arch9wavefront6targetE0EEEvSM_
                                        ; -- End function
	.set _ZN7rocprim17ROCPRIM_400000_NS6detail17trampoline_kernelINS0_14default_configENS1_22reduce_config_selectorIfEEZNS1_11reduce_implILb1ES3_N6thrust23THRUST_200600_302600_NS11hip_rocprim26transform_input_iterator_tIfNS8_17counting_iteratorIiNS8_11use_defaultESC_SC_EE11estimate_piEEPffNS8_4plusIfEEEE10hipError_tPvRmT1_T2_T3_mT4_P12ihipStream_tbEUlT_E0_NS1_11comp_targetILNS1_3genE3ELNS1_11target_archE908ELNS1_3gpuE7ELNS1_3repE0EEENS1_30default_config_static_selectorELNS0_4arch9wavefront6targetE0EEEvSM_.num_vgpr, 0
	.set _ZN7rocprim17ROCPRIM_400000_NS6detail17trampoline_kernelINS0_14default_configENS1_22reduce_config_selectorIfEEZNS1_11reduce_implILb1ES3_N6thrust23THRUST_200600_302600_NS11hip_rocprim26transform_input_iterator_tIfNS8_17counting_iteratorIiNS8_11use_defaultESC_SC_EE11estimate_piEEPffNS8_4plusIfEEEE10hipError_tPvRmT1_T2_T3_mT4_P12ihipStream_tbEUlT_E0_NS1_11comp_targetILNS1_3genE3ELNS1_11target_archE908ELNS1_3gpuE7ELNS1_3repE0EEENS1_30default_config_static_selectorELNS0_4arch9wavefront6targetE0EEEvSM_.num_agpr, 0
	.set _ZN7rocprim17ROCPRIM_400000_NS6detail17trampoline_kernelINS0_14default_configENS1_22reduce_config_selectorIfEEZNS1_11reduce_implILb1ES3_N6thrust23THRUST_200600_302600_NS11hip_rocprim26transform_input_iterator_tIfNS8_17counting_iteratorIiNS8_11use_defaultESC_SC_EE11estimate_piEEPffNS8_4plusIfEEEE10hipError_tPvRmT1_T2_T3_mT4_P12ihipStream_tbEUlT_E0_NS1_11comp_targetILNS1_3genE3ELNS1_11target_archE908ELNS1_3gpuE7ELNS1_3repE0EEENS1_30default_config_static_selectorELNS0_4arch9wavefront6targetE0EEEvSM_.numbered_sgpr, 0
	.set _ZN7rocprim17ROCPRIM_400000_NS6detail17trampoline_kernelINS0_14default_configENS1_22reduce_config_selectorIfEEZNS1_11reduce_implILb1ES3_N6thrust23THRUST_200600_302600_NS11hip_rocprim26transform_input_iterator_tIfNS8_17counting_iteratorIiNS8_11use_defaultESC_SC_EE11estimate_piEEPffNS8_4plusIfEEEE10hipError_tPvRmT1_T2_T3_mT4_P12ihipStream_tbEUlT_E0_NS1_11comp_targetILNS1_3genE3ELNS1_11target_archE908ELNS1_3gpuE7ELNS1_3repE0EEENS1_30default_config_static_selectorELNS0_4arch9wavefront6targetE0EEEvSM_.num_named_barrier, 0
	.set _ZN7rocprim17ROCPRIM_400000_NS6detail17trampoline_kernelINS0_14default_configENS1_22reduce_config_selectorIfEEZNS1_11reduce_implILb1ES3_N6thrust23THRUST_200600_302600_NS11hip_rocprim26transform_input_iterator_tIfNS8_17counting_iteratorIiNS8_11use_defaultESC_SC_EE11estimate_piEEPffNS8_4plusIfEEEE10hipError_tPvRmT1_T2_T3_mT4_P12ihipStream_tbEUlT_E0_NS1_11comp_targetILNS1_3genE3ELNS1_11target_archE908ELNS1_3gpuE7ELNS1_3repE0EEENS1_30default_config_static_selectorELNS0_4arch9wavefront6targetE0EEEvSM_.private_seg_size, 0
	.set _ZN7rocprim17ROCPRIM_400000_NS6detail17trampoline_kernelINS0_14default_configENS1_22reduce_config_selectorIfEEZNS1_11reduce_implILb1ES3_N6thrust23THRUST_200600_302600_NS11hip_rocprim26transform_input_iterator_tIfNS8_17counting_iteratorIiNS8_11use_defaultESC_SC_EE11estimate_piEEPffNS8_4plusIfEEEE10hipError_tPvRmT1_T2_T3_mT4_P12ihipStream_tbEUlT_E0_NS1_11comp_targetILNS1_3genE3ELNS1_11target_archE908ELNS1_3gpuE7ELNS1_3repE0EEENS1_30default_config_static_selectorELNS0_4arch9wavefront6targetE0EEEvSM_.uses_vcc, 0
	.set _ZN7rocprim17ROCPRIM_400000_NS6detail17trampoline_kernelINS0_14default_configENS1_22reduce_config_selectorIfEEZNS1_11reduce_implILb1ES3_N6thrust23THRUST_200600_302600_NS11hip_rocprim26transform_input_iterator_tIfNS8_17counting_iteratorIiNS8_11use_defaultESC_SC_EE11estimate_piEEPffNS8_4plusIfEEEE10hipError_tPvRmT1_T2_T3_mT4_P12ihipStream_tbEUlT_E0_NS1_11comp_targetILNS1_3genE3ELNS1_11target_archE908ELNS1_3gpuE7ELNS1_3repE0EEENS1_30default_config_static_selectorELNS0_4arch9wavefront6targetE0EEEvSM_.uses_flat_scratch, 0
	.set _ZN7rocprim17ROCPRIM_400000_NS6detail17trampoline_kernelINS0_14default_configENS1_22reduce_config_selectorIfEEZNS1_11reduce_implILb1ES3_N6thrust23THRUST_200600_302600_NS11hip_rocprim26transform_input_iterator_tIfNS8_17counting_iteratorIiNS8_11use_defaultESC_SC_EE11estimate_piEEPffNS8_4plusIfEEEE10hipError_tPvRmT1_T2_T3_mT4_P12ihipStream_tbEUlT_E0_NS1_11comp_targetILNS1_3genE3ELNS1_11target_archE908ELNS1_3gpuE7ELNS1_3repE0EEENS1_30default_config_static_selectorELNS0_4arch9wavefront6targetE0EEEvSM_.has_dyn_sized_stack, 0
	.set _ZN7rocprim17ROCPRIM_400000_NS6detail17trampoline_kernelINS0_14default_configENS1_22reduce_config_selectorIfEEZNS1_11reduce_implILb1ES3_N6thrust23THRUST_200600_302600_NS11hip_rocprim26transform_input_iterator_tIfNS8_17counting_iteratorIiNS8_11use_defaultESC_SC_EE11estimate_piEEPffNS8_4plusIfEEEE10hipError_tPvRmT1_T2_T3_mT4_P12ihipStream_tbEUlT_E0_NS1_11comp_targetILNS1_3genE3ELNS1_11target_archE908ELNS1_3gpuE7ELNS1_3repE0EEENS1_30default_config_static_selectorELNS0_4arch9wavefront6targetE0EEEvSM_.has_recursion, 0
	.set _ZN7rocprim17ROCPRIM_400000_NS6detail17trampoline_kernelINS0_14default_configENS1_22reduce_config_selectorIfEEZNS1_11reduce_implILb1ES3_N6thrust23THRUST_200600_302600_NS11hip_rocprim26transform_input_iterator_tIfNS8_17counting_iteratorIiNS8_11use_defaultESC_SC_EE11estimate_piEEPffNS8_4plusIfEEEE10hipError_tPvRmT1_T2_T3_mT4_P12ihipStream_tbEUlT_E0_NS1_11comp_targetILNS1_3genE3ELNS1_11target_archE908ELNS1_3gpuE7ELNS1_3repE0EEENS1_30default_config_static_selectorELNS0_4arch9wavefront6targetE0EEEvSM_.has_indirect_call, 0
	.section	.AMDGPU.csdata,"",@progbits
; Kernel info:
; codeLenInByte = 0
; TotalNumSgprs: 0
; NumVgprs: 0
; ScratchSize: 0
; MemoryBound: 0
; FloatMode: 240
; IeeeMode: 1
; LDSByteSize: 0 bytes/workgroup (compile time only)
; SGPRBlocks: 0
; VGPRBlocks: 0
; NumSGPRsForWavesPerEU: 1
; NumVGPRsForWavesPerEU: 1
; NamedBarCnt: 0
; Occupancy: 16
; WaveLimiterHint : 0
; COMPUTE_PGM_RSRC2:SCRATCH_EN: 0
; COMPUTE_PGM_RSRC2:USER_SGPR: 2
; COMPUTE_PGM_RSRC2:TRAP_HANDLER: 0
; COMPUTE_PGM_RSRC2:TGID_X_EN: 1
; COMPUTE_PGM_RSRC2:TGID_Y_EN: 0
; COMPUTE_PGM_RSRC2:TGID_Z_EN: 0
; COMPUTE_PGM_RSRC2:TIDIG_COMP_CNT: 0
	.section	.text._ZN7rocprim17ROCPRIM_400000_NS6detail17trampoline_kernelINS0_14default_configENS1_22reduce_config_selectorIfEEZNS1_11reduce_implILb1ES3_N6thrust23THRUST_200600_302600_NS11hip_rocprim26transform_input_iterator_tIfNS8_17counting_iteratorIiNS8_11use_defaultESC_SC_EE11estimate_piEEPffNS8_4plusIfEEEE10hipError_tPvRmT1_T2_T3_mT4_P12ihipStream_tbEUlT_E0_NS1_11comp_targetILNS1_3genE2ELNS1_11target_archE906ELNS1_3gpuE6ELNS1_3repE0EEENS1_30default_config_static_selectorELNS0_4arch9wavefront6targetE0EEEvSM_,"axG",@progbits,_ZN7rocprim17ROCPRIM_400000_NS6detail17trampoline_kernelINS0_14default_configENS1_22reduce_config_selectorIfEEZNS1_11reduce_implILb1ES3_N6thrust23THRUST_200600_302600_NS11hip_rocprim26transform_input_iterator_tIfNS8_17counting_iteratorIiNS8_11use_defaultESC_SC_EE11estimate_piEEPffNS8_4plusIfEEEE10hipError_tPvRmT1_T2_T3_mT4_P12ihipStream_tbEUlT_E0_NS1_11comp_targetILNS1_3genE2ELNS1_11target_archE906ELNS1_3gpuE6ELNS1_3repE0EEENS1_30default_config_static_selectorELNS0_4arch9wavefront6targetE0EEEvSM_,comdat
	.protected	_ZN7rocprim17ROCPRIM_400000_NS6detail17trampoline_kernelINS0_14default_configENS1_22reduce_config_selectorIfEEZNS1_11reduce_implILb1ES3_N6thrust23THRUST_200600_302600_NS11hip_rocprim26transform_input_iterator_tIfNS8_17counting_iteratorIiNS8_11use_defaultESC_SC_EE11estimate_piEEPffNS8_4plusIfEEEE10hipError_tPvRmT1_T2_T3_mT4_P12ihipStream_tbEUlT_E0_NS1_11comp_targetILNS1_3genE2ELNS1_11target_archE906ELNS1_3gpuE6ELNS1_3repE0EEENS1_30default_config_static_selectorELNS0_4arch9wavefront6targetE0EEEvSM_ ; -- Begin function _ZN7rocprim17ROCPRIM_400000_NS6detail17trampoline_kernelINS0_14default_configENS1_22reduce_config_selectorIfEEZNS1_11reduce_implILb1ES3_N6thrust23THRUST_200600_302600_NS11hip_rocprim26transform_input_iterator_tIfNS8_17counting_iteratorIiNS8_11use_defaultESC_SC_EE11estimate_piEEPffNS8_4plusIfEEEE10hipError_tPvRmT1_T2_T3_mT4_P12ihipStream_tbEUlT_E0_NS1_11comp_targetILNS1_3genE2ELNS1_11target_archE906ELNS1_3gpuE6ELNS1_3repE0EEENS1_30default_config_static_selectorELNS0_4arch9wavefront6targetE0EEEvSM_
	.globl	_ZN7rocprim17ROCPRIM_400000_NS6detail17trampoline_kernelINS0_14default_configENS1_22reduce_config_selectorIfEEZNS1_11reduce_implILb1ES3_N6thrust23THRUST_200600_302600_NS11hip_rocprim26transform_input_iterator_tIfNS8_17counting_iteratorIiNS8_11use_defaultESC_SC_EE11estimate_piEEPffNS8_4plusIfEEEE10hipError_tPvRmT1_T2_T3_mT4_P12ihipStream_tbEUlT_E0_NS1_11comp_targetILNS1_3genE2ELNS1_11target_archE906ELNS1_3gpuE6ELNS1_3repE0EEENS1_30default_config_static_selectorELNS0_4arch9wavefront6targetE0EEEvSM_
	.p2align	8
	.type	_ZN7rocprim17ROCPRIM_400000_NS6detail17trampoline_kernelINS0_14default_configENS1_22reduce_config_selectorIfEEZNS1_11reduce_implILb1ES3_N6thrust23THRUST_200600_302600_NS11hip_rocprim26transform_input_iterator_tIfNS8_17counting_iteratorIiNS8_11use_defaultESC_SC_EE11estimate_piEEPffNS8_4plusIfEEEE10hipError_tPvRmT1_T2_T3_mT4_P12ihipStream_tbEUlT_E0_NS1_11comp_targetILNS1_3genE2ELNS1_11target_archE906ELNS1_3gpuE6ELNS1_3repE0EEENS1_30default_config_static_selectorELNS0_4arch9wavefront6targetE0EEEvSM_,@function
_ZN7rocprim17ROCPRIM_400000_NS6detail17trampoline_kernelINS0_14default_configENS1_22reduce_config_selectorIfEEZNS1_11reduce_implILb1ES3_N6thrust23THRUST_200600_302600_NS11hip_rocprim26transform_input_iterator_tIfNS8_17counting_iteratorIiNS8_11use_defaultESC_SC_EE11estimate_piEEPffNS8_4plusIfEEEE10hipError_tPvRmT1_T2_T3_mT4_P12ihipStream_tbEUlT_E0_NS1_11comp_targetILNS1_3genE2ELNS1_11target_archE906ELNS1_3gpuE6ELNS1_3repE0EEENS1_30default_config_static_selectorELNS0_4arch9wavefront6targetE0EEEvSM_: ; @_ZN7rocprim17ROCPRIM_400000_NS6detail17trampoline_kernelINS0_14default_configENS1_22reduce_config_selectorIfEEZNS1_11reduce_implILb1ES3_N6thrust23THRUST_200600_302600_NS11hip_rocprim26transform_input_iterator_tIfNS8_17counting_iteratorIiNS8_11use_defaultESC_SC_EE11estimate_piEEPffNS8_4plusIfEEEE10hipError_tPvRmT1_T2_T3_mT4_P12ihipStream_tbEUlT_E0_NS1_11comp_targetILNS1_3genE2ELNS1_11target_archE906ELNS1_3gpuE6ELNS1_3repE0EEENS1_30default_config_static_selectorELNS0_4arch9wavefront6targetE0EEEvSM_
; %bb.0:
	.section	.rodata,"a",@progbits
	.p2align	6, 0x0
	.amdhsa_kernel _ZN7rocprim17ROCPRIM_400000_NS6detail17trampoline_kernelINS0_14default_configENS1_22reduce_config_selectorIfEEZNS1_11reduce_implILb1ES3_N6thrust23THRUST_200600_302600_NS11hip_rocprim26transform_input_iterator_tIfNS8_17counting_iteratorIiNS8_11use_defaultESC_SC_EE11estimate_piEEPffNS8_4plusIfEEEE10hipError_tPvRmT1_T2_T3_mT4_P12ihipStream_tbEUlT_E0_NS1_11comp_targetILNS1_3genE2ELNS1_11target_archE906ELNS1_3gpuE6ELNS1_3repE0EEENS1_30default_config_static_selectorELNS0_4arch9wavefront6targetE0EEEvSM_
		.amdhsa_group_segment_fixed_size 0
		.amdhsa_private_segment_fixed_size 0
		.amdhsa_kernarg_size 56
		.amdhsa_user_sgpr_count 2
		.amdhsa_user_sgpr_dispatch_ptr 0
		.amdhsa_user_sgpr_queue_ptr 0
		.amdhsa_user_sgpr_kernarg_segment_ptr 1
		.amdhsa_user_sgpr_dispatch_id 0
		.amdhsa_user_sgpr_kernarg_preload_length 0
		.amdhsa_user_sgpr_kernarg_preload_offset 0
		.amdhsa_user_sgpr_private_segment_size 0
		.amdhsa_wavefront_size32 1
		.amdhsa_uses_dynamic_stack 0
		.amdhsa_enable_private_segment 0
		.amdhsa_system_sgpr_workgroup_id_x 1
		.amdhsa_system_sgpr_workgroup_id_y 0
		.amdhsa_system_sgpr_workgroup_id_z 0
		.amdhsa_system_sgpr_workgroup_info 0
		.amdhsa_system_vgpr_workitem_id 0
		.amdhsa_next_free_vgpr 1
		.amdhsa_next_free_sgpr 1
		.amdhsa_named_barrier_count 0
		.amdhsa_reserve_vcc 0
		.amdhsa_float_round_mode_32 0
		.amdhsa_float_round_mode_16_64 0
		.amdhsa_float_denorm_mode_32 3
		.amdhsa_float_denorm_mode_16_64 3
		.amdhsa_fp16_overflow 0
		.amdhsa_memory_ordered 1
		.amdhsa_forward_progress 1
		.amdhsa_inst_pref_size 0
		.amdhsa_round_robin_scheduling 0
		.amdhsa_exception_fp_ieee_invalid_op 0
		.amdhsa_exception_fp_denorm_src 0
		.amdhsa_exception_fp_ieee_div_zero 0
		.amdhsa_exception_fp_ieee_overflow 0
		.amdhsa_exception_fp_ieee_underflow 0
		.amdhsa_exception_fp_ieee_inexact 0
		.amdhsa_exception_int_div_zero 0
	.end_amdhsa_kernel
	.section	.text._ZN7rocprim17ROCPRIM_400000_NS6detail17trampoline_kernelINS0_14default_configENS1_22reduce_config_selectorIfEEZNS1_11reduce_implILb1ES3_N6thrust23THRUST_200600_302600_NS11hip_rocprim26transform_input_iterator_tIfNS8_17counting_iteratorIiNS8_11use_defaultESC_SC_EE11estimate_piEEPffNS8_4plusIfEEEE10hipError_tPvRmT1_T2_T3_mT4_P12ihipStream_tbEUlT_E0_NS1_11comp_targetILNS1_3genE2ELNS1_11target_archE906ELNS1_3gpuE6ELNS1_3repE0EEENS1_30default_config_static_selectorELNS0_4arch9wavefront6targetE0EEEvSM_,"axG",@progbits,_ZN7rocprim17ROCPRIM_400000_NS6detail17trampoline_kernelINS0_14default_configENS1_22reduce_config_selectorIfEEZNS1_11reduce_implILb1ES3_N6thrust23THRUST_200600_302600_NS11hip_rocprim26transform_input_iterator_tIfNS8_17counting_iteratorIiNS8_11use_defaultESC_SC_EE11estimate_piEEPffNS8_4plusIfEEEE10hipError_tPvRmT1_T2_T3_mT4_P12ihipStream_tbEUlT_E0_NS1_11comp_targetILNS1_3genE2ELNS1_11target_archE906ELNS1_3gpuE6ELNS1_3repE0EEENS1_30default_config_static_selectorELNS0_4arch9wavefront6targetE0EEEvSM_,comdat
.Lfunc_end22:
	.size	_ZN7rocprim17ROCPRIM_400000_NS6detail17trampoline_kernelINS0_14default_configENS1_22reduce_config_selectorIfEEZNS1_11reduce_implILb1ES3_N6thrust23THRUST_200600_302600_NS11hip_rocprim26transform_input_iterator_tIfNS8_17counting_iteratorIiNS8_11use_defaultESC_SC_EE11estimate_piEEPffNS8_4plusIfEEEE10hipError_tPvRmT1_T2_T3_mT4_P12ihipStream_tbEUlT_E0_NS1_11comp_targetILNS1_3genE2ELNS1_11target_archE906ELNS1_3gpuE6ELNS1_3repE0EEENS1_30default_config_static_selectorELNS0_4arch9wavefront6targetE0EEEvSM_, .Lfunc_end22-_ZN7rocprim17ROCPRIM_400000_NS6detail17trampoline_kernelINS0_14default_configENS1_22reduce_config_selectorIfEEZNS1_11reduce_implILb1ES3_N6thrust23THRUST_200600_302600_NS11hip_rocprim26transform_input_iterator_tIfNS8_17counting_iteratorIiNS8_11use_defaultESC_SC_EE11estimate_piEEPffNS8_4plusIfEEEE10hipError_tPvRmT1_T2_T3_mT4_P12ihipStream_tbEUlT_E0_NS1_11comp_targetILNS1_3genE2ELNS1_11target_archE906ELNS1_3gpuE6ELNS1_3repE0EEENS1_30default_config_static_selectorELNS0_4arch9wavefront6targetE0EEEvSM_
                                        ; -- End function
	.set _ZN7rocprim17ROCPRIM_400000_NS6detail17trampoline_kernelINS0_14default_configENS1_22reduce_config_selectorIfEEZNS1_11reduce_implILb1ES3_N6thrust23THRUST_200600_302600_NS11hip_rocprim26transform_input_iterator_tIfNS8_17counting_iteratorIiNS8_11use_defaultESC_SC_EE11estimate_piEEPffNS8_4plusIfEEEE10hipError_tPvRmT1_T2_T3_mT4_P12ihipStream_tbEUlT_E0_NS1_11comp_targetILNS1_3genE2ELNS1_11target_archE906ELNS1_3gpuE6ELNS1_3repE0EEENS1_30default_config_static_selectorELNS0_4arch9wavefront6targetE0EEEvSM_.num_vgpr, 0
	.set _ZN7rocprim17ROCPRIM_400000_NS6detail17trampoline_kernelINS0_14default_configENS1_22reduce_config_selectorIfEEZNS1_11reduce_implILb1ES3_N6thrust23THRUST_200600_302600_NS11hip_rocprim26transform_input_iterator_tIfNS8_17counting_iteratorIiNS8_11use_defaultESC_SC_EE11estimate_piEEPffNS8_4plusIfEEEE10hipError_tPvRmT1_T2_T3_mT4_P12ihipStream_tbEUlT_E0_NS1_11comp_targetILNS1_3genE2ELNS1_11target_archE906ELNS1_3gpuE6ELNS1_3repE0EEENS1_30default_config_static_selectorELNS0_4arch9wavefront6targetE0EEEvSM_.num_agpr, 0
	.set _ZN7rocprim17ROCPRIM_400000_NS6detail17trampoline_kernelINS0_14default_configENS1_22reduce_config_selectorIfEEZNS1_11reduce_implILb1ES3_N6thrust23THRUST_200600_302600_NS11hip_rocprim26transform_input_iterator_tIfNS8_17counting_iteratorIiNS8_11use_defaultESC_SC_EE11estimate_piEEPffNS8_4plusIfEEEE10hipError_tPvRmT1_T2_T3_mT4_P12ihipStream_tbEUlT_E0_NS1_11comp_targetILNS1_3genE2ELNS1_11target_archE906ELNS1_3gpuE6ELNS1_3repE0EEENS1_30default_config_static_selectorELNS0_4arch9wavefront6targetE0EEEvSM_.numbered_sgpr, 0
	.set _ZN7rocprim17ROCPRIM_400000_NS6detail17trampoline_kernelINS0_14default_configENS1_22reduce_config_selectorIfEEZNS1_11reduce_implILb1ES3_N6thrust23THRUST_200600_302600_NS11hip_rocprim26transform_input_iterator_tIfNS8_17counting_iteratorIiNS8_11use_defaultESC_SC_EE11estimate_piEEPffNS8_4plusIfEEEE10hipError_tPvRmT1_T2_T3_mT4_P12ihipStream_tbEUlT_E0_NS1_11comp_targetILNS1_3genE2ELNS1_11target_archE906ELNS1_3gpuE6ELNS1_3repE0EEENS1_30default_config_static_selectorELNS0_4arch9wavefront6targetE0EEEvSM_.num_named_barrier, 0
	.set _ZN7rocprim17ROCPRIM_400000_NS6detail17trampoline_kernelINS0_14default_configENS1_22reduce_config_selectorIfEEZNS1_11reduce_implILb1ES3_N6thrust23THRUST_200600_302600_NS11hip_rocprim26transform_input_iterator_tIfNS8_17counting_iteratorIiNS8_11use_defaultESC_SC_EE11estimate_piEEPffNS8_4plusIfEEEE10hipError_tPvRmT1_T2_T3_mT4_P12ihipStream_tbEUlT_E0_NS1_11comp_targetILNS1_3genE2ELNS1_11target_archE906ELNS1_3gpuE6ELNS1_3repE0EEENS1_30default_config_static_selectorELNS0_4arch9wavefront6targetE0EEEvSM_.private_seg_size, 0
	.set _ZN7rocprim17ROCPRIM_400000_NS6detail17trampoline_kernelINS0_14default_configENS1_22reduce_config_selectorIfEEZNS1_11reduce_implILb1ES3_N6thrust23THRUST_200600_302600_NS11hip_rocprim26transform_input_iterator_tIfNS8_17counting_iteratorIiNS8_11use_defaultESC_SC_EE11estimate_piEEPffNS8_4plusIfEEEE10hipError_tPvRmT1_T2_T3_mT4_P12ihipStream_tbEUlT_E0_NS1_11comp_targetILNS1_3genE2ELNS1_11target_archE906ELNS1_3gpuE6ELNS1_3repE0EEENS1_30default_config_static_selectorELNS0_4arch9wavefront6targetE0EEEvSM_.uses_vcc, 0
	.set _ZN7rocprim17ROCPRIM_400000_NS6detail17trampoline_kernelINS0_14default_configENS1_22reduce_config_selectorIfEEZNS1_11reduce_implILb1ES3_N6thrust23THRUST_200600_302600_NS11hip_rocprim26transform_input_iterator_tIfNS8_17counting_iteratorIiNS8_11use_defaultESC_SC_EE11estimate_piEEPffNS8_4plusIfEEEE10hipError_tPvRmT1_T2_T3_mT4_P12ihipStream_tbEUlT_E0_NS1_11comp_targetILNS1_3genE2ELNS1_11target_archE906ELNS1_3gpuE6ELNS1_3repE0EEENS1_30default_config_static_selectorELNS0_4arch9wavefront6targetE0EEEvSM_.uses_flat_scratch, 0
	.set _ZN7rocprim17ROCPRIM_400000_NS6detail17trampoline_kernelINS0_14default_configENS1_22reduce_config_selectorIfEEZNS1_11reduce_implILb1ES3_N6thrust23THRUST_200600_302600_NS11hip_rocprim26transform_input_iterator_tIfNS8_17counting_iteratorIiNS8_11use_defaultESC_SC_EE11estimate_piEEPffNS8_4plusIfEEEE10hipError_tPvRmT1_T2_T3_mT4_P12ihipStream_tbEUlT_E0_NS1_11comp_targetILNS1_3genE2ELNS1_11target_archE906ELNS1_3gpuE6ELNS1_3repE0EEENS1_30default_config_static_selectorELNS0_4arch9wavefront6targetE0EEEvSM_.has_dyn_sized_stack, 0
	.set _ZN7rocprim17ROCPRIM_400000_NS6detail17trampoline_kernelINS0_14default_configENS1_22reduce_config_selectorIfEEZNS1_11reduce_implILb1ES3_N6thrust23THRUST_200600_302600_NS11hip_rocprim26transform_input_iterator_tIfNS8_17counting_iteratorIiNS8_11use_defaultESC_SC_EE11estimate_piEEPffNS8_4plusIfEEEE10hipError_tPvRmT1_T2_T3_mT4_P12ihipStream_tbEUlT_E0_NS1_11comp_targetILNS1_3genE2ELNS1_11target_archE906ELNS1_3gpuE6ELNS1_3repE0EEENS1_30default_config_static_selectorELNS0_4arch9wavefront6targetE0EEEvSM_.has_recursion, 0
	.set _ZN7rocprim17ROCPRIM_400000_NS6detail17trampoline_kernelINS0_14default_configENS1_22reduce_config_selectorIfEEZNS1_11reduce_implILb1ES3_N6thrust23THRUST_200600_302600_NS11hip_rocprim26transform_input_iterator_tIfNS8_17counting_iteratorIiNS8_11use_defaultESC_SC_EE11estimate_piEEPffNS8_4plusIfEEEE10hipError_tPvRmT1_T2_T3_mT4_P12ihipStream_tbEUlT_E0_NS1_11comp_targetILNS1_3genE2ELNS1_11target_archE906ELNS1_3gpuE6ELNS1_3repE0EEENS1_30default_config_static_selectorELNS0_4arch9wavefront6targetE0EEEvSM_.has_indirect_call, 0
	.section	.AMDGPU.csdata,"",@progbits
; Kernel info:
; codeLenInByte = 0
; TotalNumSgprs: 0
; NumVgprs: 0
; ScratchSize: 0
; MemoryBound: 0
; FloatMode: 240
; IeeeMode: 1
; LDSByteSize: 0 bytes/workgroup (compile time only)
; SGPRBlocks: 0
; VGPRBlocks: 0
; NumSGPRsForWavesPerEU: 1
; NumVGPRsForWavesPerEU: 1
; NamedBarCnt: 0
; Occupancy: 16
; WaveLimiterHint : 0
; COMPUTE_PGM_RSRC2:SCRATCH_EN: 0
; COMPUTE_PGM_RSRC2:USER_SGPR: 2
; COMPUTE_PGM_RSRC2:TRAP_HANDLER: 0
; COMPUTE_PGM_RSRC2:TGID_X_EN: 1
; COMPUTE_PGM_RSRC2:TGID_Y_EN: 0
; COMPUTE_PGM_RSRC2:TGID_Z_EN: 0
; COMPUTE_PGM_RSRC2:TIDIG_COMP_CNT: 0
	.section	.text._ZN7rocprim17ROCPRIM_400000_NS6detail17trampoline_kernelINS0_14default_configENS1_22reduce_config_selectorIfEEZNS1_11reduce_implILb1ES3_N6thrust23THRUST_200600_302600_NS11hip_rocprim26transform_input_iterator_tIfNS8_17counting_iteratorIiNS8_11use_defaultESC_SC_EE11estimate_piEEPffNS8_4plusIfEEEE10hipError_tPvRmT1_T2_T3_mT4_P12ihipStream_tbEUlT_E0_NS1_11comp_targetILNS1_3genE10ELNS1_11target_archE1201ELNS1_3gpuE5ELNS1_3repE0EEENS1_30default_config_static_selectorELNS0_4arch9wavefront6targetE0EEEvSM_,"axG",@progbits,_ZN7rocprim17ROCPRIM_400000_NS6detail17trampoline_kernelINS0_14default_configENS1_22reduce_config_selectorIfEEZNS1_11reduce_implILb1ES3_N6thrust23THRUST_200600_302600_NS11hip_rocprim26transform_input_iterator_tIfNS8_17counting_iteratorIiNS8_11use_defaultESC_SC_EE11estimate_piEEPffNS8_4plusIfEEEE10hipError_tPvRmT1_T2_T3_mT4_P12ihipStream_tbEUlT_E0_NS1_11comp_targetILNS1_3genE10ELNS1_11target_archE1201ELNS1_3gpuE5ELNS1_3repE0EEENS1_30default_config_static_selectorELNS0_4arch9wavefront6targetE0EEEvSM_,comdat
	.protected	_ZN7rocprim17ROCPRIM_400000_NS6detail17trampoline_kernelINS0_14default_configENS1_22reduce_config_selectorIfEEZNS1_11reduce_implILb1ES3_N6thrust23THRUST_200600_302600_NS11hip_rocprim26transform_input_iterator_tIfNS8_17counting_iteratorIiNS8_11use_defaultESC_SC_EE11estimate_piEEPffNS8_4plusIfEEEE10hipError_tPvRmT1_T2_T3_mT4_P12ihipStream_tbEUlT_E0_NS1_11comp_targetILNS1_3genE10ELNS1_11target_archE1201ELNS1_3gpuE5ELNS1_3repE0EEENS1_30default_config_static_selectorELNS0_4arch9wavefront6targetE0EEEvSM_ ; -- Begin function _ZN7rocprim17ROCPRIM_400000_NS6detail17trampoline_kernelINS0_14default_configENS1_22reduce_config_selectorIfEEZNS1_11reduce_implILb1ES3_N6thrust23THRUST_200600_302600_NS11hip_rocprim26transform_input_iterator_tIfNS8_17counting_iteratorIiNS8_11use_defaultESC_SC_EE11estimate_piEEPffNS8_4plusIfEEEE10hipError_tPvRmT1_T2_T3_mT4_P12ihipStream_tbEUlT_E0_NS1_11comp_targetILNS1_3genE10ELNS1_11target_archE1201ELNS1_3gpuE5ELNS1_3repE0EEENS1_30default_config_static_selectorELNS0_4arch9wavefront6targetE0EEEvSM_
	.globl	_ZN7rocprim17ROCPRIM_400000_NS6detail17trampoline_kernelINS0_14default_configENS1_22reduce_config_selectorIfEEZNS1_11reduce_implILb1ES3_N6thrust23THRUST_200600_302600_NS11hip_rocprim26transform_input_iterator_tIfNS8_17counting_iteratorIiNS8_11use_defaultESC_SC_EE11estimate_piEEPffNS8_4plusIfEEEE10hipError_tPvRmT1_T2_T3_mT4_P12ihipStream_tbEUlT_E0_NS1_11comp_targetILNS1_3genE10ELNS1_11target_archE1201ELNS1_3gpuE5ELNS1_3repE0EEENS1_30default_config_static_selectorELNS0_4arch9wavefront6targetE0EEEvSM_
	.p2align	8
	.type	_ZN7rocprim17ROCPRIM_400000_NS6detail17trampoline_kernelINS0_14default_configENS1_22reduce_config_selectorIfEEZNS1_11reduce_implILb1ES3_N6thrust23THRUST_200600_302600_NS11hip_rocprim26transform_input_iterator_tIfNS8_17counting_iteratorIiNS8_11use_defaultESC_SC_EE11estimate_piEEPffNS8_4plusIfEEEE10hipError_tPvRmT1_T2_T3_mT4_P12ihipStream_tbEUlT_E0_NS1_11comp_targetILNS1_3genE10ELNS1_11target_archE1201ELNS1_3gpuE5ELNS1_3repE0EEENS1_30default_config_static_selectorELNS0_4arch9wavefront6targetE0EEEvSM_,@function
_ZN7rocprim17ROCPRIM_400000_NS6detail17trampoline_kernelINS0_14default_configENS1_22reduce_config_selectorIfEEZNS1_11reduce_implILb1ES3_N6thrust23THRUST_200600_302600_NS11hip_rocprim26transform_input_iterator_tIfNS8_17counting_iteratorIiNS8_11use_defaultESC_SC_EE11estimate_piEEPffNS8_4plusIfEEEE10hipError_tPvRmT1_T2_T3_mT4_P12ihipStream_tbEUlT_E0_NS1_11comp_targetILNS1_3genE10ELNS1_11target_archE1201ELNS1_3gpuE5ELNS1_3repE0EEENS1_30default_config_static_selectorELNS0_4arch9wavefront6targetE0EEEvSM_: ; @_ZN7rocprim17ROCPRIM_400000_NS6detail17trampoline_kernelINS0_14default_configENS1_22reduce_config_selectorIfEEZNS1_11reduce_implILb1ES3_N6thrust23THRUST_200600_302600_NS11hip_rocprim26transform_input_iterator_tIfNS8_17counting_iteratorIiNS8_11use_defaultESC_SC_EE11estimate_piEEPffNS8_4plusIfEEEE10hipError_tPvRmT1_T2_T3_mT4_P12ihipStream_tbEUlT_E0_NS1_11comp_targetILNS1_3genE10ELNS1_11target_archE1201ELNS1_3gpuE5ELNS1_3repE0EEENS1_30default_config_static_selectorELNS0_4arch9wavefront6targetE0EEEvSM_
; %bb.0:
	.section	.rodata,"a",@progbits
	.p2align	6, 0x0
	.amdhsa_kernel _ZN7rocprim17ROCPRIM_400000_NS6detail17trampoline_kernelINS0_14default_configENS1_22reduce_config_selectorIfEEZNS1_11reduce_implILb1ES3_N6thrust23THRUST_200600_302600_NS11hip_rocprim26transform_input_iterator_tIfNS8_17counting_iteratorIiNS8_11use_defaultESC_SC_EE11estimate_piEEPffNS8_4plusIfEEEE10hipError_tPvRmT1_T2_T3_mT4_P12ihipStream_tbEUlT_E0_NS1_11comp_targetILNS1_3genE10ELNS1_11target_archE1201ELNS1_3gpuE5ELNS1_3repE0EEENS1_30default_config_static_selectorELNS0_4arch9wavefront6targetE0EEEvSM_
		.amdhsa_group_segment_fixed_size 0
		.amdhsa_private_segment_fixed_size 0
		.amdhsa_kernarg_size 56
		.amdhsa_user_sgpr_count 2
		.amdhsa_user_sgpr_dispatch_ptr 0
		.amdhsa_user_sgpr_queue_ptr 0
		.amdhsa_user_sgpr_kernarg_segment_ptr 1
		.amdhsa_user_sgpr_dispatch_id 0
		.amdhsa_user_sgpr_kernarg_preload_length 0
		.amdhsa_user_sgpr_kernarg_preload_offset 0
		.amdhsa_user_sgpr_private_segment_size 0
		.amdhsa_wavefront_size32 1
		.amdhsa_uses_dynamic_stack 0
		.amdhsa_enable_private_segment 0
		.amdhsa_system_sgpr_workgroup_id_x 1
		.amdhsa_system_sgpr_workgroup_id_y 0
		.amdhsa_system_sgpr_workgroup_id_z 0
		.amdhsa_system_sgpr_workgroup_info 0
		.amdhsa_system_vgpr_workitem_id 0
		.amdhsa_next_free_vgpr 1
		.amdhsa_next_free_sgpr 1
		.amdhsa_named_barrier_count 0
		.amdhsa_reserve_vcc 0
		.amdhsa_float_round_mode_32 0
		.amdhsa_float_round_mode_16_64 0
		.amdhsa_float_denorm_mode_32 3
		.amdhsa_float_denorm_mode_16_64 3
		.amdhsa_fp16_overflow 0
		.amdhsa_memory_ordered 1
		.amdhsa_forward_progress 1
		.amdhsa_inst_pref_size 0
		.amdhsa_round_robin_scheduling 0
		.amdhsa_exception_fp_ieee_invalid_op 0
		.amdhsa_exception_fp_denorm_src 0
		.amdhsa_exception_fp_ieee_div_zero 0
		.amdhsa_exception_fp_ieee_overflow 0
		.amdhsa_exception_fp_ieee_underflow 0
		.amdhsa_exception_fp_ieee_inexact 0
		.amdhsa_exception_int_div_zero 0
	.end_amdhsa_kernel
	.section	.text._ZN7rocprim17ROCPRIM_400000_NS6detail17trampoline_kernelINS0_14default_configENS1_22reduce_config_selectorIfEEZNS1_11reduce_implILb1ES3_N6thrust23THRUST_200600_302600_NS11hip_rocprim26transform_input_iterator_tIfNS8_17counting_iteratorIiNS8_11use_defaultESC_SC_EE11estimate_piEEPffNS8_4plusIfEEEE10hipError_tPvRmT1_T2_T3_mT4_P12ihipStream_tbEUlT_E0_NS1_11comp_targetILNS1_3genE10ELNS1_11target_archE1201ELNS1_3gpuE5ELNS1_3repE0EEENS1_30default_config_static_selectorELNS0_4arch9wavefront6targetE0EEEvSM_,"axG",@progbits,_ZN7rocprim17ROCPRIM_400000_NS6detail17trampoline_kernelINS0_14default_configENS1_22reduce_config_selectorIfEEZNS1_11reduce_implILb1ES3_N6thrust23THRUST_200600_302600_NS11hip_rocprim26transform_input_iterator_tIfNS8_17counting_iteratorIiNS8_11use_defaultESC_SC_EE11estimate_piEEPffNS8_4plusIfEEEE10hipError_tPvRmT1_T2_T3_mT4_P12ihipStream_tbEUlT_E0_NS1_11comp_targetILNS1_3genE10ELNS1_11target_archE1201ELNS1_3gpuE5ELNS1_3repE0EEENS1_30default_config_static_selectorELNS0_4arch9wavefront6targetE0EEEvSM_,comdat
.Lfunc_end23:
	.size	_ZN7rocprim17ROCPRIM_400000_NS6detail17trampoline_kernelINS0_14default_configENS1_22reduce_config_selectorIfEEZNS1_11reduce_implILb1ES3_N6thrust23THRUST_200600_302600_NS11hip_rocprim26transform_input_iterator_tIfNS8_17counting_iteratorIiNS8_11use_defaultESC_SC_EE11estimate_piEEPffNS8_4plusIfEEEE10hipError_tPvRmT1_T2_T3_mT4_P12ihipStream_tbEUlT_E0_NS1_11comp_targetILNS1_3genE10ELNS1_11target_archE1201ELNS1_3gpuE5ELNS1_3repE0EEENS1_30default_config_static_selectorELNS0_4arch9wavefront6targetE0EEEvSM_, .Lfunc_end23-_ZN7rocprim17ROCPRIM_400000_NS6detail17trampoline_kernelINS0_14default_configENS1_22reduce_config_selectorIfEEZNS1_11reduce_implILb1ES3_N6thrust23THRUST_200600_302600_NS11hip_rocprim26transform_input_iterator_tIfNS8_17counting_iteratorIiNS8_11use_defaultESC_SC_EE11estimate_piEEPffNS8_4plusIfEEEE10hipError_tPvRmT1_T2_T3_mT4_P12ihipStream_tbEUlT_E0_NS1_11comp_targetILNS1_3genE10ELNS1_11target_archE1201ELNS1_3gpuE5ELNS1_3repE0EEENS1_30default_config_static_selectorELNS0_4arch9wavefront6targetE0EEEvSM_
                                        ; -- End function
	.set _ZN7rocprim17ROCPRIM_400000_NS6detail17trampoline_kernelINS0_14default_configENS1_22reduce_config_selectorIfEEZNS1_11reduce_implILb1ES3_N6thrust23THRUST_200600_302600_NS11hip_rocprim26transform_input_iterator_tIfNS8_17counting_iteratorIiNS8_11use_defaultESC_SC_EE11estimate_piEEPffNS8_4plusIfEEEE10hipError_tPvRmT1_T2_T3_mT4_P12ihipStream_tbEUlT_E0_NS1_11comp_targetILNS1_3genE10ELNS1_11target_archE1201ELNS1_3gpuE5ELNS1_3repE0EEENS1_30default_config_static_selectorELNS0_4arch9wavefront6targetE0EEEvSM_.num_vgpr, 0
	.set _ZN7rocprim17ROCPRIM_400000_NS6detail17trampoline_kernelINS0_14default_configENS1_22reduce_config_selectorIfEEZNS1_11reduce_implILb1ES3_N6thrust23THRUST_200600_302600_NS11hip_rocprim26transform_input_iterator_tIfNS8_17counting_iteratorIiNS8_11use_defaultESC_SC_EE11estimate_piEEPffNS8_4plusIfEEEE10hipError_tPvRmT1_T2_T3_mT4_P12ihipStream_tbEUlT_E0_NS1_11comp_targetILNS1_3genE10ELNS1_11target_archE1201ELNS1_3gpuE5ELNS1_3repE0EEENS1_30default_config_static_selectorELNS0_4arch9wavefront6targetE0EEEvSM_.num_agpr, 0
	.set _ZN7rocprim17ROCPRIM_400000_NS6detail17trampoline_kernelINS0_14default_configENS1_22reduce_config_selectorIfEEZNS1_11reduce_implILb1ES3_N6thrust23THRUST_200600_302600_NS11hip_rocprim26transform_input_iterator_tIfNS8_17counting_iteratorIiNS8_11use_defaultESC_SC_EE11estimate_piEEPffNS8_4plusIfEEEE10hipError_tPvRmT1_T2_T3_mT4_P12ihipStream_tbEUlT_E0_NS1_11comp_targetILNS1_3genE10ELNS1_11target_archE1201ELNS1_3gpuE5ELNS1_3repE0EEENS1_30default_config_static_selectorELNS0_4arch9wavefront6targetE0EEEvSM_.numbered_sgpr, 0
	.set _ZN7rocprim17ROCPRIM_400000_NS6detail17trampoline_kernelINS0_14default_configENS1_22reduce_config_selectorIfEEZNS1_11reduce_implILb1ES3_N6thrust23THRUST_200600_302600_NS11hip_rocprim26transform_input_iterator_tIfNS8_17counting_iteratorIiNS8_11use_defaultESC_SC_EE11estimate_piEEPffNS8_4plusIfEEEE10hipError_tPvRmT1_T2_T3_mT4_P12ihipStream_tbEUlT_E0_NS1_11comp_targetILNS1_3genE10ELNS1_11target_archE1201ELNS1_3gpuE5ELNS1_3repE0EEENS1_30default_config_static_selectorELNS0_4arch9wavefront6targetE0EEEvSM_.num_named_barrier, 0
	.set _ZN7rocprim17ROCPRIM_400000_NS6detail17trampoline_kernelINS0_14default_configENS1_22reduce_config_selectorIfEEZNS1_11reduce_implILb1ES3_N6thrust23THRUST_200600_302600_NS11hip_rocprim26transform_input_iterator_tIfNS8_17counting_iteratorIiNS8_11use_defaultESC_SC_EE11estimate_piEEPffNS8_4plusIfEEEE10hipError_tPvRmT1_T2_T3_mT4_P12ihipStream_tbEUlT_E0_NS1_11comp_targetILNS1_3genE10ELNS1_11target_archE1201ELNS1_3gpuE5ELNS1_3repE0EEENS1_30default_config_static_selectorELNS0_4arch9wavefront6targetE0EEEvSM_.private_seg_size, 0
	.set _ZN7rocprim17ROCPRIM_400000_NS6detail17trampoline_kernelINS0_14default_configENS1_22reduce_config_selectorIfEEZNS1_11reduce_implILb1ES3_N6thrust23THRUST_200600_302600_NS11hip_rocprim26transform_input_iterator_tIfNS8_17counting_iteratorIiNS8_11use_defaultESC_SC_EE11estimate_piEEPffNS8_4plusIfEEEE10hipError_tPvRmT1_T2_T3_mT4_P12ihipStream_tbEUlT_E0_NS1_11comp_targetILNS1_3genE10ELNS1_11target_archE1201ELNS1_3gpuE5ELNS1_3repE0EEENS1_30default_config_static_selectorELNS0_4arch9wavefront6targetE0EEEvSM_.uses_vcc, 0
	.set _ZN7rocprim17ROCPRIM_400000_NS6detail17trampoline_kernelINS0_14default_configENS1_22reduce_config_selectorIfEEZNS1_11reduce_implILb1ES3_N6thrust23THRUST_200600_302600_NS11hip_rocprim26transform_input_iterator_tIfNS8_17counting_iteratorIiNS8_11use_defaultESC_SC_EE11estimate_piEEPffNS8_4plusIfEEEE10hipError_tPvRmT1_T2_T3_mT4_P12ihipStream_tbEUlT_E0_NS1_11comp_targetILNS1_3genE10ELNS1_11target_archE1201ELNS1_3gpuE5ELNS1_3repE0EEENS1_30default_config_static_selectorELNS0_4arch9wavefront6targetE0EEEvSM_.uses_flat_scratch, 0
	.set _ZN7rocprim17ROCPRIM_400000_NS6detail17trampoline_kernelINS0_14default_configENS1_22reduce_config_selectorIfEEZNS1_11reduce_implILb1ES3_N6thrust23THRUST_200600_302600_NS11hip_rocprim26transform_input_iterator_tIfNS8_17counting_iteratorIiNS8_11use_defaultESC_SC_EE11estimate_piEEPffNS8_4plusIfEEEE10hipError_tPvRmT1_T2_T3_mT4_P12ihipStream_tbEUlT_E0_NS1_11comp_targetILNS1_3genE10ELNS1_11target_archE1201ELNS1_3gpuE5ELNS1_3repE0EEENS1_30default_config_static_selectorELNS0_4arch9wavefront6targetE0EEEvSM_.has_dyn_sized_stack, 0
	.set _ZN7rocprim17ROCPRIM_400000_NS6detail17trampoline_kernelINS0_14default_configENS1_22reduce_config_selectorIfEEZNS1_11reduce_implILb1ES3_N6thrust23THRUST_200600_302600_NS11hip_rocprim26transform_input_iterator_tIfNS8_17counting_iteratorIiNS8_11use_defaultESC_SC_EE11estimate_piEEPffNS8_4plusIfEEEE10hipError_tPvRmT1_T2_T3_mT4_P12ihipStream_tbEUlT_E0_NS1_11comp_targetILNS1_3genE10ELNS1_11target_archE1201ELNS1_3gpuE5ELNS1_3repE0EEENS1_30default_config_static_selectorELNS0_4arch9wavefront6targetE0EEEvSM_.has_recursion, 0
	.set _ZN7rocprim17ROCPRIM_400000_NS6detail17trampoline_kernelINS0_14default_configENS1_22reduce_config_selectorIfEEZNS1_11reduce_implILb1ES3_N6thrust23THRUST_200600_302600_NS11hip_rocprim26transform_input_iterator_tIfNS8_17counting_iteratorIiNS8_11use_defaultESC_SC_EE11estimate_piEEPffNS8_4plusIfEEEE10hipError_tPvRmT1_T2_T3_mT4_P12ihipStream_tbEUlT_E0_NS1_11comp_targetILNS1_3genE10ELNS1_11target_archE1201ELNS1_3gpuE5ELNS1_3repE0EEENS1_30default_config_static_selectorELNS0_4arch9wavefront6targetE0EEEvSM_.has_indirect_call, 0
	.section	.AMDGPU.csdata,"",@progbits
; Kernel info:
; codeLenInByte = 0
; TotalNumSgprs: 0
; NumVgprs: 0
; ScratchSize: 0
; MemoryBound: 0
; FloatMode: 240
; IeeeMode: 1
; LDSByteSize: 0 bytes/workgroup (compile time only)
; SGPRBlocks: 0
; VGPRBlocks: 0
; NumSGPRsForWavesPerEU: 1
; NumVGPRsForWavesPerEU: 1
; NamedBarCnt: 0
; Occupancy: 16
; WaveLimiterHint : 0
; COMPUTE_PGM_RSRC2:SCRATCH_EN: 0
; COMPUTE_PGM_RSRC2:USER_SGPR: 2
; COMPUTE_PGM_RSRC2:TRAP_HANDLER: 0
; COMPUTE_PGM_RSRC2:TGID_X_EN: 1
; COMPUTE_PGM_RSRC2:TGID_Y_EN: 0
; COMPUTE_PGM_RSRC2:TGID_Z_EN: 0
; COMPUTE_PGM_RSRC2:TIDIG_COMP_CNT: 0
	.section	.text._ZN7rocprim17ROCPRIM_400000_NS6detail17trampoline_kernelINS0_14default_configENS1_22reduce_config_selectorIfEEZNS1_11reduce_implILb1ES3_N6thrust23THRUST_200600_302600_NS11hip_rocprim26transform_input_iterator_tIfNS8_17counting_iteratorIiNS8_11use_defaultESC_SC_EE11estimate_piEEPffNS8_4plusIfEEEE10hipError_tPvRmT1_T2_T3_mT4_P12ihipStream_tbEUlT_E0_NS1_11comp_targetILNS1_3genE10ELNS1_11target_archE1200ELNS1_3gpuE4ELNS1_3repE0EEENS1_30default_config_static_selectorELNS0_4arch9wavefront6targetE0EEEvSM_,"axG",@progbits,_ZN7rocprim17ROCPRIM_400000_NS6detail17trampoline_kernelINS0_14default_configENS1_22reduce_config_selectorIfEEZNS1_11reduce_implILb1ES3_N6thrust23THRUST_200600_302600_NS11hip_rocprim26transform_input_iterator_tIfNS8_17counting_iteratorIiNS8_11use_defaultESC_SC_EE11estimate_piEEPffNS8_4plusIfEEEE10hipError_tPvRmT1_T2_T3_mT4_P12ihipStream_tbEUlT_E0_NS1_11comp_targetILNS1_3genE10ELNS1_11target_archE1200ELNS1_3gpuE4ELNS1_3repE0EEENS1_30default_config_static_selectorELNS0_4arch9wavefront6targetE0EEEvSM_,comdat
	.protected	_ZN7rocprim17ROCPRIM_400000_NS6detail17trampoline_kernelINS0_14default_configENS1_22reduce_config_selectorIfEEZNS1_11reduce_implILb1ES3_N6thrust23THRUST_200600_302600_NS11hip_rocprim26transform_input_iterator_tIfNS8_17counting_iteratorIiNS8_11use_defaultESC_SC_EE11estimate_piEEPffNS8_4plusIfEEEE10hipError_tPvRmT1_T2_T3_mT4_P12ihipStream_tbEUlT_E0_NS1_11comp_targetILNS1_3genE10ELNS1_11target_archE1200ELNS1_3gpuE4ELNS1_3repE0EEENS1_30default_config_static_selectorELNS0_4arch9wavefront6targetE0EEEvSM_ ; -- Begin function _ZN7rocprim17ROCPRIM_400000_NS6detail17trampoline_kernelINS0_14default_configENS1_22reduce_config_selectorIfEEZNS1_11reduce_implILb1ES3_N6thrust23THRUST_200600_302600_NS11hip_rocprim26transform_input_iterator_tIfNS8_17counting_iteratorIiNS8_11use_defaultESC_SC_EE11estimate_piEEPffNS8_4plusIfEEEE10hipError_tPvRmT1_T2_T3_mT4_P12ihipStream_tbEUlT_E0_NS1_11comp_targetILNS1_3genE10ELNS1_11target_archE1200ELNS1_3gpuE4ELNS1_3repE0EEENS1_30default_config_static_selectorELNS0_4arch9wavefront6targetE0EEEvSM_
	.globl	_ZN7rocprim17ROCPRIM_400000_NS6detail17trampoline_kernelINS0_14default_configENS1_22reduce_config_selectorIfEEZNS1_11reduce_implILb1ES3_N6thrust23THRUST_200600_302600_NS11hip_rocprim26transform_input_iterator_tIfNS8_17counting_iteratorIiNS8_11use_defaultESC_SC_EE11estimate_piEEPffNS8_4plusIfEEEE10hipError_tPvRmT1_T2_T3_mT4_P12ihipStream_tbEUlT_E0_NS1_11comp_targetILNS1_3genE10ELNS1_11target_archE1200ELNS1_3gpuE4ELNS1_3repE0EEENS1_30default_config_static_selectorELNS0_4arch9wavefront6targetE0EEEvSM_
	.p2align	8
	.type	_ZN7rocprim17ROCPRIM_400000_NS6detail17trampoline_kernelINS0_14default_configENS1_22reduce_config_selectorIfEEZNS1_11reduce_implILb1ES3_N6thrust23THRUST_200600_302600_NS11hip_rocprim26transform_input_iterator_tIfNS8_17counting_iteratorIiNS8_11use_defaultESC_SC_EE11estimate_piEEPffNS8_4plusIfEEEE10hipError_tPvRmT1_T2_T3_mT4_P12ihipStream_tbEUlT_E0_NS1_11comp_targetILNS1_3genE10ELNS1_11target_archE1200ELNS1_3gpuE4ELNS1_3repE0EEENS1_30default_config_static_selectorELNS0_4arch9wavefront6targetE0EEEvSM_,@function
_ZN7rocprim17ROCPRIM_400000_NS6detail17trampoline_kernelINS0_14default_configENS1_22reduce_config_selectorIfEEZNS1_11reduce_implILb1ES3_N6thrust23THRUST_200600_302600_NS11hip_rocprim26transform_input_iterator_tIfNS8_17counting_iteratorIiNS8_11use_defaultESC_SC_EE11estimate_piEEPffNS8_4plusIfEEEE10hipError_tPvRmT1_T2_T3_mT4_P12ihipStream_tbEUlT_E0_NS1_11comp_targetILNS1_3genE10ELNS1_11target_archE1200ELNS1_3gpuE4ELNS1_3repE0EEENS1_30default_config_static_selectorELNS0_4arch9wavefront6targetE0EEEvSM_: ; @_ZN7rocprim17ROCPRIM_400000_NS6detail17trampoline_kernelINS0_14default_configENS1_22reduce_config_selectorIfEEZNS1_11reduce_implILb1ES3_N6thrust23THRUST_200600_302600_NS11hip_rocprim26transform_input_iterator_tIfNS8_17counting_iteratorIiNS8_11use_defaultESC_SC_EE11estimate_piEEPffNS8_4plusIfEEEE10hipError_tPvRmT1_T2_T3_mT4_P12ihipStream_tbEUlT_E0_NS1_11comp_targetILNS1_3genE10ELNS1_11target_archE1200ELNS1_3gpuE4ELNS1_3repE0EEENS1_30default_config_static_selectorELNS0_4arch9wavefront6targetE0EEEvSM_
; %bb.0:
	.section	.rodata,"a",@progbits
	.p2align	6, 0x0
	.amdhsa_kernel _ZN7rocprim17ROCPRIM_400000_NS6detail17trampoline_kernelINS0_14default_configENS1_22reduce_config_selectorIfEEZNS1_11reduce_implILb1ES3_N6thrust23THRUST_200600_302600_NS11hip_rocprim26transform_input_iterator_tIfNS8_17counting_iteratorIiNS8_11use_defaultESC_SC_EE11estimate_piEEPffNS8_4plusIfEEEE10hipError_tPvRmT1_T2_T3_mT4_P12ihipStream_tbEUlT_E0_NS1_11comp_targetILNS1_3genE10ELNS1_11target_archE1200ELNS1_3gpuE4ELNS1_3repE0EEENS1_30default_config_static_selectorELNS0_4arch9wavefront6targetE0EEEvSM_
		.amdhsa_group_segment_fixed_size 0
		.amdhsa_private_segment_fixed_size 0
		.amdhsa_kernarg_size 56
		.amdhsa_user_sgpr_count 2
		.amdhsa_user_sgpr_dispatch_ptr 0
		.amdhsa_user_sgpr_queue_ptr 0
		.amdhsa_user_sgpr_kernarg_segment_ptr 1
		.amdhsa_user_sgpr_dispatch_id 0
		.amdhsa_user_sgpr_kernarg_preload_length 0
		.amdhsa_user_sgpr_kernarg_preload_offset 0
		.amdhsa_user_sgpr_private_segment_size 0
		.amdhsa_wavefront_size32 1
		.amdhsa_uses_dynamic_stack 0
		.amdhsa_enable_private_segment 0
		.amdhsa_system_sgpr_workgroup_id_x 1
		.amdhsa_system_sgpr_workgroup_id_y 0
		.amdhsa_system_sgpr_workgroup_id_z 0
		.amdhsa_system_sgpr_workgroup_info 0
		.amdhsa_system_vgpr_workitem_id 0
		.amdhsa_next_free_vgpr 1
		.amdhsa_next_free_sgpr 1
		.amdhsa_named_barrier_count 0
		.amdhsa_reserve_vcc 0
		.amdhsa_float_round_mode_32 0
		.amdhsa_float_round_mode_16_64 0
		.amdhsa_float_denorm_mode_32 3
		.amdhsa_float_denorm_mode_16_64 3
		.amdhsa_fp16_overflow 0
		.amdhsa_memory_ordered 1
		.amdhsa_forward_progress 1
		.amdhsa_inst_pref_size 0
		.amdhsa_round_robin_scheduling 0
		.amdhsa_exception_fp_ieee_invalid_op 0
		.amdhsa_exception_fp_denorm_src 0
		.amdhsa_exception_fp_ieee_div_zero 0
		.amdhsa_exception_fp_ieee_overflow 0
		.amdhsa_exception_fp_ieee_underflow 0
		.amdhsa_exception_fp_ieee_inexact 0
		.amdhsa_exception_int_div_zero 0
	.end_amdhsa_kernel
	.section	.text._ZN7rocprim17ROCPRIM_400000_NS6detail17trampoline_kernelINS0_14default_configENS1_22reduce_config_selectorIfEEZNS1_11reduce_implILb1ES3_N6thrust23THRUST_200600_302600_NS11hip_rocprim26transform_input_iterator_tIfNS8_17counting_iteratorIiNS8_11use_defaultESC_SC_EE11estimate_piEEPffNS8_4plusIfEEEE10hipError_tPvRmT1_T2_T3_mT4_P12ihipStream_tbEUlT_E0_NS1_11comp_targetILNS1_3genE10ELNS1_11target_archE1200ELNS1_3gpuE4ELNS1_3repE0EEENS1_30default_config_static_selectorELNS0_4arch9wavefront6targetE0EEEvSM_,"axG",@progbits,_ZN7rocprim17ROCPRIM_400000_NS6detail17trampoline_kernelINS0_14default_configENS1_22reduce_config_selectorIfEEZNS1_11reduce_implILb1ES3_N6thrust23THRUST_200600_302600_NS11hip_rocprim26transform_input_iterator_tIfNS8_17counting_iteratorIiNS8_11use_defaultESC_SC_EE11estimate_piEEPffNS8_4plusIfEEEE10hipError_tPvRmT1_T2_T3_mT4_P12ihipStream_tbEUlT_E0_NS1_11comp_targetILNS1_3genE10ELNS1_11target_archE1200ELNS1_3gpuE4ELNS1_3repE0EEENS1_30default_config_static_selectorELNS0_4arch9wavefront6targetE0EEEvSM_,comdat
.Lfunc_end24:
	.size	_ZN7rocprim17ROCPRIM_400000_NS6detail17trampoline_kernelINS0_14default_configENS1_22reduce_config_selectorIfEEZNS1_11reduce_implILb1ES3_N6thrust23THRUST_200600_302600_NS11hip_rocprim26transform_input_iterator_tIfNS8_17counting_iteratorIiNS8_11use_defaultESC_SC_EE11estimate_piEEPffNS8_4plusIfEEEE10hipError_tPvRmT1_T2_T3_mT4_P12ihipStream_tbEUlT_E0_NS1_11comp_targetILNS1_3genE10ELNS1_11target_archE1200ELNS1_3gpuE4ELNS1_3repE0EEENS1_30default_config_static_selectorELNS0_4arch9wavefront6targetE0EEEvSM_, .Lfunc_end24-_ZN7rocprim17ROCPRIM_400000_NS6detail17trampoline_kernelINS0_14default_configENS1_22reduce_config_selectorIfEEZNS1_11reduce_implILb1ES3_N6thrust23THRUST_200600_302600_NS11hip_rocprim26transform_input_iterator_tIfNS8_17counting_iteratorIiNS8_11use_defaultESC_SC_EE11estimate_piEEPffNS8_4plusIfEEEE10hipError_tPvRmT1_T2_T3_mT4_P12ihipStream_tbEUlT_E0_NS1_11comp_targetILNS1_3genE10ELNS1_11target_archE1200ELNS1_3gpuE4ELNS1_3repE0EEENS1_30default_config_static_selectorELNS0_4arch9wavefront6targetE0EEEvSM_
                                        ; -- End function
	.set _ZN7rocprim17ROCPRIM_400000_NS6detail17trampoline_kernelINS0_14default_configENS1_22reduce_config_selectorIfEEZNS1_11reduce_implILb1ES3_N6thrust23THRUST_200600_302600_NS11hip_rocprim26transform_input_iterator_tIfNS8_17counting_iteratorIiNS8_11use_defaultESC_SC_EE11estimate_piEEPffNS8_4plusIfEEEE10hipError_tPvRmT1_T2_T3_mT4_P12ihipStream_tbEUlT_E0_NS1_11comp_targetILNS1_3genE10ELNS1_11target_archE1200ELNS1_3gpuE4ELNS1_3repE0EEENS1_30default_config_static_selectorELNS0_4arch9wavefront6targetE0EEEvSM_.num_vgpr, 0
	.set _ZN7rocprim17ROCPRIM_400000_NS6detail17trampoline_kernelINS0_14default_configENS1_22reduce_config_selectorIfEEZNS1_11reduce_implILb1ES3_N6thrust23THRUST_200600_302600_NS11hip_rocprim26transform_input_iterator_tIfNS8_17counting_iteratorIiNS8_11use_defaultESC_SC_EE11estimate_piEEPffNS8_4plusIfEEEE10hipError_tPvRmT1_T2_T3_mT4_P12ihipStream_tbEUlT_E0_NS1_11comp_targetILNS1_3genE10ELNS1_11target_archE1200ELNS1_3gpuE4ELNS1_3repE0EEENS1_30default_config_static_selectorELNS0_4arch9wavefront6targetE0EEEvSM_.num_agpr, 0
	.set _ZN7rocprim17ROCPRIM_400000_NS6detail17trampoline_kernelINS0_14default_configENS1_22reduce_config_selectorIfEEZNS1_11reduce_implILb1ES3_N6thrust23THRUST_200600_302600_NS11hip_rocprim26transform_input_iterator_tIfNS8_17counting_iteratorIiNS8_11use_defaultESC_SC_EE11estimate_piEEPffNS8_4plusIfEEEE10hipError_tPvRmT1_T2_T3_mT4_P12ihipStream_tbEUlT_E0_NS1_11comp_targetILNS1_3genE10ELNS1_11target_archE1200ELNS1_3gpuE4ELNS1_3repE0EEENS1_30default_config_static_selectorELNS0_4arch9wavefront6targetE0EEEvSM_.numbered_sgpr, 0
	.set _ZN7rocprim17ROCPRIM_400000_NS6detail17trampoline_kernelINS0_14default_configENS1_22reduce_config_selectorIfEEZNS1_11reduce_implILb1ES3_N6thrust23THRUST_200600_302600_NS11hip_rocprim26transform_input_iterator_tIfNS8_17counting_iteratorIiNS8_11use_defaultESC_SC_EE11estimate_piEEPffNS8_4plusIfEEEE10hipError_tPvRmT1_T2_T3_mT4_P12ihipStream_tbEUlT_E0_NS1_11comp_targetILNS1_3genE10ELNS1_11target_archE1200ELNS1_3gpuE4ELNS1_3repE0EEENS1_30default_config_static_selectorELNS0_4arch9wavefront6targetE0EEEvSM_.num_named_barrier, 0
	.set _ZN7rocprim17ROCPRIM_400000_NS6detail17trampoline_kernelINS0_14default_configENS1_22reduce_config_selectorIfEEZNS1_11reduce_implILb1ES3_N6thrust23THRUST_200600_302600_NS11hip_rocprim26transform_input_iterator_tIfNS8_17counting_iteratorIiNS8_11use_defaultESC_SC_EE11estimate_piEEPffNS8_4plusIfEEEE10hipError_tPvRmT1_T2_T3_mT4_P12ihipStream_tbEUlT_E0_NS1_11comp_targetILNS1_3genE10ELNS1_11target_archE1200ELNS1_3gpuE4ELNS1_3repE0EEENS1_30default_config_static_selectorELNS0_4arch9wavefront6targetE0EEEvSM_.private_seg_size, 0
	.set _ZN7rocprim17ROCPRIM_400000_NS6detail17trampoline_kernelINS0_14default_configENS1_22reduce_config_selectorIfEEZNS1_11reduce_implILb1ES3_N6thrust23THRUST_200600_302600_NS11hip_rocprim26transform_input_iterator_tIfNS8_17counting_iteratorIiNS8_11use_defaultESC_SC_EE11estimate_piEEPffNS8_4plusIfEEEE10hipError_tPvRmT1_T2_T3_mT4_P12ihipStream_tbEUlT_E0_NS1_11comp_targetILNS1_3genE10ELNS1_11target_archE1200ELNS1_3gpuE4ELNS1_3repE0EEENS1_30default_config_static_selectorELNS0_4arch9wavefront6targetE0EEEvSM_.uses_vcc, 0
	.set _ZN7rocprim17ROCPRIM_400000_NS6detail17trampoline_kernelINS0_14default_configENS1_22reduce_config_selectorIfEEZNS1_11reduce_implILb1ES3_N6thrust23THRUST_200600_302600_NS11hip_rocprim26transform_input_iterator_tIfNS8_17counting_iteratorIiNS8_11use_defaultESC_SC_EE11estimate_piEEPffNS8_4plusIfEEEE10hipError_tPvRmT1_T2_T3_mT4_P12ihipStream_tbEUlT_E0_NS1_11comp_targetILNS1_3genE10ELNS1_11target_archE1200ELNS1_3gpuE4ELNS1_3repE0EEENS1_30default_config_static_selectorELNS0_4arch9wavefront6targetE0EEEvSM_.uses_flat_scratch, 0
	.set _ZN7rocprim17ROCPRIM_400000_NS6detail17trampoline_kernelINS0_14default_configENS1_22reduce_config_selectorIfEEZNS1_11reduce_implILb1ES3_N6thrust23THRUST_200600_302600_NS11hip_rocprim26transform_input_iterator_tIfNS8_17counting_iteratorIiNS8_11use_defaultESC_SC_EE11estimate_piEEPffNS8_4plusIfEEEE10hipError_tPvRmT1_T2_T3_mT4_P12ihipStream_tbEUlT_E0_NS1_11comp_targetILNS1_3genE10ELNS1_11target_archE1200ELNS1_3gpuE4ELNS1_3repE0EEENS1_30default_config_static_selectorELNS0_4arch9wavefront6targetE0EEEvSM_.has_dyn_sized_stack, 0
	.set _ZN7rocprim17ROCPRIM_400000_NS6detail17trampoline_kernelINS0_14default_configENS1_22reduce_config_selectorIfEEZNS1_11reduce_implILb1ES3_N6thrust23THRUST_200600_302600_NS11hip_rocprim26transform_input_iterator_tIfNS8_17counting_iteratorIiNS8_11use_defaultESC_SC_EE11estimate_piEEPffNS8_4plusIfEEEE10hipError_tPvRmT1_T2_T3_mT4_P12ihipStream_tbEUlT_E0_NS1_11comp_targetILNS1_3genE10ELNS1_11target_archE1200ELNS1_3gpuE4ELNS1_3repE0EEENS1_30default_config_static_selectorELNS0_4arch9wavefront6targetE0EEEvSM_.has_recursion, 0
	.set _ZN7rocprim17ROCPRIM_400000_NS6detail17trampoline_kernelINS0_14default_configENS1_22reduce_config_selectorIfEEZNS1_11reduce_implILb1ES3_N6thrust23THRUST_200600_302600_NS11hip_rocprim26transform_input_iterator_tIfNS8_17counting_iteratorIiNS8_11use_defaultESC_SC_EE11estimate_piEEPffNS8_4plusIfEEEE10hipError_tPvRmT1_T2_T3_mT4_P12ihipStream_tbEUlT_E0_NS1_11comp_targetILNS1_3genE10ELNS1_11target_archE1200ELNS1_3gpuE4ELNS1_3repE0EEENS1_30default_config_static_selectorELNS0_4arch9wavefront6targetE0EEEvSM_.has_indirect_call, 0
	.section	.AMDGPU.csdata,"",@progbits
; Kernel info:
; codeLenInByte = 0
; TotalNumSgprs: 0
; NumVgprs: 0
; ScratchSize: 0
; MemoryBound: 0
; FloatMode: 240
; IeeeMode: 1
; LDSByteSize: 0 bytes/workgroup (compile time only)
; SGPRBlocks: 0
; VGPRBlocks: 0
; NumSGPRsForWavesPerEU: 1
; NumVGPRsForWavesPerEU: 1
; NamedBarCnt: 0
; Occupancy: 16
; WaveLimiterHint : 0
; COMPUTE_PGM_RSRC2:SCRATCH_EN: 0
; COMPUTE_PGM_RSRC2:USER_SGPR: 2
; COMPUTE_PGM_RSRC2:TRAP_HANDLER: 0
; COMPUTE_PGM_RSRC2:TGID_X_EN: 1
; COMPUTE_PGM_RSRC2:TGID_Y_EN: 0
; COMPUTE_PGM_RSRC2:TGID_Z_EN: 0
; COMPUTE_PGM_RSRC2:TIDIG_COMP_CNT: 0
	.section	.text._ZN7rocprim17ROCPRIM_400000_NS6detail17trampoline_kernelINS0_14default_configENS1_22reduce_config_selectorIfEEZNS1_11reduce_implILb1ES3_N6thrust23THRUST_200600_302600_NS11hip_rocprim26transform_input_iterator_tIfNS8_17counting_iteratorIiNS8_11use_defaultESC_SC_EE11estimate_piEEPffNS8_4plusIfEEEE10hipError_tPvRmT1_T2_T3_mT4_P12ihipStream_tbEUlT_E0_NS1_11comp_targetILNS1_3genE9ELNS1_11target_archE1100ELNS1_3gpuE3ELNS1_3repE0EEENS1_30default_config_static_selectorELNS0_4arch9wavefront6targetE0EEEvSM_,"axG",@progbits,_ZN7rocprim17ROCPRIM_400000_NS6detail17trampoline_kernelINS0_14default_configENS1_22reduce_config_selectorIfEEZNS1_11reduce_implILb1ES3_N6thrust23THRUST_200600_302600_NS11hip_rocprim26transform_input_iterator_tIfNS8_17counting_iteratorIiNS8_11use_defaultESC_SC_EE11estimate_piEEPffNS8_4plusIfEEEE10hipError_tPvRmT1_T2_T3_mT4_P12ihipStream_tbEUlT_E0_NS1_11comp_targetILNS1_3genE9ELNS1_11target_archE1100ELNS1_3gpuE3ELNS1_3repE0EEENS1_30default_config_static_selectorELNS0_4arch9wavefront6targetE0EEEvSM_,comdat
	.protected	_ZN7rocprim17ROCPRIM_400000_NS6detail17trampoline_kernelINS0_14default_configENS1_22reduce_config_selectorIfEEZNS1_11reduce_implILb1ES3_N6thrust23THRUST_200600_302600_NS11hip_rocprim26transform_input_iterator_tIfNS8_17counting_iteratorIiNS8_11use_defaultESC_SC_EE11estimate_piEEPffNS8_4plusIfEEEE10hipError_tPvRmT1_T2_T3_mT4_P12ihipStream_tbEUlT_E0_NS1_11comp_targetILNS1_3genE9ELNS1_11target_archE1100ELNS1_3gpuE3ELNS1_3repE0EEENS1_30default_config_static_selectorELNS0_4arch9wavefront6targetE0EEEvSM_ ; -- Begin function _ZN7rocprim17ROCPRIM_400000_NS6detail17trampoline_kernelINS0_14default_configENS1_22reduce_config_selectorIfEEZNS1_11reduce_implILb1ES3_N6thrust23THRUST_200600_302600_NS11hip_rocprim26transform_input_iterator_tIfNS8_17counting_iteratorIiNS8_11use_defaultESC_SC_EE11estimate_piEEPffNS8_4plusIfEEEE10hipError_tPvRmT1_T2_T3_mT4_P12ihipStream_tbEUlT_E0_NS1_11comp_targetILNS1_3genE9ELNS1_11target_archE1100ELNS1_3gpuE3ELNS1_3repE0EEENS1_30default_config_static_selectorELNS0_4arch9wavefront6targetE0EEEvSM_
	.globl	_ZN7rocprim17ROCPRIM_400000_NS6detail17trampoline_kernelINS0_14default_configENS1_22reduce_config_selectorIfEEZNS1_11reduce_implILb1ES3_N6thrust23THRUST_200600_302600_NS11hip_rocprim26transform_input_iterator_tIfNS8_17counting_iteratorIiNS8_11use_defaultESC_SC_EE11estimate_piEEPffNS8_4plusIfEEEE10hipError_tPvRmT1_T2_T3_mT4_P12ihipStream_tbEUlT_E0_NS1_11comp_targetILNS1_3genE9ELNS1_11target_archE1100ELNS1_3gpuE3ELNS1_3repE0EEENS1_30default_config_static_selectorELNS0_4arch9wavefront6targetE0EEEvSM_
	.p2align	8
	.type	_ZN7rocprim17ROCPRIM_400000_NS6detail17trampoline_kernelINS0_14default_configENS1_22reduce_config_selectorIfEEZNS1_11reduce_implILb1ES3_N6thrust23THRUST_200600_302600_NS11hip_rocprim26transform_input_iterator_tIfNS8_17counting_iteratorIiNS8_11use_defaultESC_SC_EE11estimate_piEEPffNS8_4plusIfEEEE10hipError_tPvRmT1_T2_T3_mT4_P12ihipStream_tbEUlT_E0_NS1_11comp_targetILNS1_3genE9ELNS1_11target_archE1100ELNS1_3gpuE3ELNS1_3repE0EEENS1_30default_config_static_selectorELNS0_4arch9wavefront6targetE0EEEvSM_,@function
_ZN7rocprim17ROCPRIM_400000_NS6detail17trampoline_kernelINS0_14default_configENS1_22reduce_config_selectorIfEEZNS1_11reduce_implILb1ES3_N6thrust23THRUST_200600_302600_NS11hip_rocprim26transform_input_iterator_tIfNS8_17counting_iteratorIiNS8_11use_defaultESC_SC_EE11estimate_piEEPffNS8_4plusIfEEEE10hipError_tPvRmT1_T2_T3_mT4_P12ihipStream_tbEUlT_E0_NS1_11comp_targetILNS1_3genE9ELNS1_11target_archE1100ELNS1_3gpuE3ELNS1_3repE0EEENS1_30default_config_static_selectorELNS0_4arch9wavefront6targetE0EEEvSM_: ; @_ZN7rocprim17ROCPRIM_400000_NS6detail17trampoline_kernelINS0_14default_configENS1_22reduce_config_selectorIfEEZNS1_11reduce_implILb1ES3_N6thrust23THRUST_200600_302600_NS11hip_rocprim26transform_input_iterator_tIfNS8_17counting_iteratorIiNS8_11use_defaultESC_SC_EE11estimate_piEEPffNS8_4plusIfEEEE10hipError_tPvRmT1_T2_T3_mT4_P12ihipStream_tbEUlT_E0_NS1_11comp_targetILNS1_3genE9ELNS1_11target_archE1100ELNS1_3gpuE3ELNS1_3repE0EEENS1_30default_config_static_selectorELNS0_4arch9wavefront6targetE0EEEvSM_
; %bb.0:
	.section	.rodata,"a",@progbits
	.p2align	6, 0x0
	.amdhsa_kernel _ZN7rocprim17ROCPRIM_400000_NS6detail17trampoline_kernelINS0_14default_configENS1_22reduce_config_selectorIfEEZNS1_11reduce_implILb1ES3_N6thrust23THRUST_200600_302600_NS11hip_rocprim26transform_input_iterator_tIfNS8_17counting_iteratorIiNS8_11use_defaultESC_SC_EE11estimate_piEEPffNS8_4plusIfEEEE10hipError_tPvRmT1_T2_T3_mT4_P12ihipStream_tbEUlT_E0_NS1_11comp_targetILNS1_3genE9ELNS1_11target_archE1100ELNS1_3gpuE3ELNS1_3repE0EEENS1_30default_config_static_selectorELNS0_4arch9wavefront6targetE0EEEvSM_
		.amdhsa_group_segment_fixed_size 0
		.amdhsa_private_segment_fixed_size 0
		.amdhsa_kernarg_size 56
		.amdhsa_user_sgpr_count 2
		.amdhsa_user_sgpr_dispatch_ptr 0
		.amdhsa_user_sgpr_queue_ptr 0
		.amdhsa_user_sgpr_kernarg_segment_ptr 1
		.amdhsa_user_sgpr_dispatch_id 0
		.amdhsa_user_sgpr_kernarg_preload_length 0
		.amdhsa_user_sgpr_kernarg_preload_offset 0
		.amdhsa_user_sgpr_private_segment_size 0
		.amdhsa_wavefront_size32 1
		.amdhsa_uses_dynamic_stack 0
		.amdhsa_enable_private_segment 0
		.amdhsa_system_sgpr_workgroup_id_x 1
		.amdhsa_system_sgpr_workgroup_id_y 0
		.amdhsa_system_sgpr_workgroup_id_z 0
		.amdhsa_system_sgpr_workgroup_info 0
		.amdhsa_system_vgpr_workitem_id 0
		.amdhsa_next_free_vgpr 1
		.amdhsa_next_free_sgpr 1
		.amdhsa_named_barrier_count 0
		.amdhsa_reserve_vcc 0
		.amdhsa_float_round_mode_32 0
		.amdhsa_float_round_mode_16_64 0
		.amdhsa_float_denorm_mode_32 3
		.amdhsa_float_denorm_mode_16_64 3
		.amdhsa_fp16_overflow 0
		.amdhsa_memory_ordered 1
		.amdhsa_forward_progress 1
		.amdhsa_inst_pref_size 0
		.amdhsa_round_robin_scheduling 0
		.amdhsa_exception_fp_ieee_invalid_op 0
		.amdhsa_exception_fp_denorm_src 0
		.amdhsa_exception_fp_ieee_div_zero 0
		.amdhsa_exception_fp_ieee_overflow 0
		.amdhsa_exception_fp_ieee_underflow 0
		.amdhsa_exception_fp_ieee_inexact 0
		.amdhsa_exception_int_div_zero 0
	.end_amdhsa_kernel
	.section	.text._ZN7rocprim17ROCPRIM_400000_NS6detail17trampoline_kernelINS0_14default_configENS1_22reduce_config_selectorIfEEZNS1_11reduce_implILb1ES3_N6thrust23THRUST_200600_302600_NS11hip_rocprim26transform_input_iterator_tIfNS8_17counting_iteratorIiNS8_11use_defaultESC_SC_EE11estimate_piEEPffNS8_4plusIfEEEE10hipError_tPvRmT1_T2_T3_mT4_P12ihipStream_tbEUlT_E0_NS1_11comp_targetILNS1_3genE9ELNS1_11target_archE1100ELNS1_3gpuE3ELNS1_3repE0EEENS1_30default_config_static_selectorELNS0_4arch9wavefront6targetE0EEEvSM_,"axG",@progbits,_ZN7rocprim17ROCPRIM_400000_NS6detail17trampoline_kernelINS0_14default_configENS1_22reduce_config_selectorIfEEZNS1_11reduce_implILb1ES3_N6thrust23THRUST_200600_302600_NS11hip_rocprim26transform_input_iterator_tIfNS8_17counting_iteratorIiNS8_11use_defaultESC_SC_EE11estimate_piEEPffNS8_4plusIfEEEE10hipError_tPvRmT1_T2_T3_mT4_P12ihipStream_tbEUlT_E0_NS1_11comp_targetILNS1_3genE9ELNS1_11target_archE1100ELNS1_3gpuE3ELNS1_3repE0EEENS1_30default_config_static_selectorELNS0_4arch9wavefront6targetE0EEEvSM_,comdat
.Lfunc_end25:
	.size	_ZN7rocprim17ROCPRIM_400000_NS6detail17trampoline_kernelINS0_14default_configENS1_22reduce_config_selectorIfEEZNS1_11reduce_implILb1ES3_N6thrust23THRUST_200600_302600_NS11hip_rocprim26transform_input_iterator_tIfNS8_17counting_iteratorIiNS8_11use_defaultESC_SC_EE11estimate_piEEPffNS8_4plusIfEEEE10hipError_tPvRmT1_T2_T3_mT4_P12ihipStream_tbEUlT_E0_NS1_11comp_targetILNS1_3genE9ELNS1_11target_archE1100ELNS1_3gpuE3ELNS1_3repE0EEENS1_30default_config_static_selectorELNS0_4arch9wavefront6targetE0EEEvSM_, .Lfunc_end25-_ZN7rocprim17ROCPRIM_400000_NS6detail17trampoline_kernelINS0_14default_configENS1_22reduce_config_selectorIfEEZNS1_11reduce_implILb1ES3_N6thrust23THRUST_200600_302600_NS11hip_rocprim26transform_input_iterator_tIfNS8_17counting_iteratorIiNS8_11use_defaultESC_SC_EE11estimate_piEEPffNS8_4plusIfEEEE10hipError_tPvRmT1_T2_T3_mT4_P12ihipStream_tbEUlT_E0_NS1_11comp_targetILNS1_3genE9ELNS1_11target_archE1100ELNS1_3gpuE3ELNS1_3repE0EEENS1_30default_config_static_selectorELNS0_4arch9wavefront6targetE0EEEvSM_
                                        ; -- End function
	.set _ZN7rocprim17ROCPRIM_400000_NS6detail17trampoline_kernelINS0_14default_configENS1_22reduce_config_selectorIfEEZNS1_11reduce_implILb1ES3_N6thrust23THRUST_200600_302600_NS11hip_rocprim26transform_input_iterator_tIfNS8_17counting_iteratorIiNS8_11use_defaultESC_SC_EE11estimate_piEEPffNS8_4plusIfEEEE10hipError_tPvRmT1_T2_T3_mT4_P12ihipStream_tbEUlT_E0_NS1_11comp_targetILNS1_3genE9ELNS1_11target_archE1100ELNS1_3gpuE3ELNS1_3repE0EEENS1_30default_config_static_selectorELNS0_4arch9wavefront6targetE0EEEvSM_.num_vgpr, 0
	.set _ZN7rocprim17ROCPRIM_400000_NS6detail17trampoline_kernelINS0_14default_configENS1_22reduce_config_selectorIfEEZNS1_11reduce_implILb1ES3_N6thrust23THRUST_200600_302600_NS11hip_rocprim26transform_input_iterator_tIfNS8_17counting_iteratorIiNS8_11use_defaultESC_SC_EE11estimate_piEEPffNS8_4plusIfEEEE10hipError_tPvRmT1_T2_T3_mT4_P12ihipStream_tbEUlT_E0_NS1_11comp_targetILNS1_3genE9ELNS1_11target_archE1100ELNS1_3gpuE3ELNS1_3repE0EEENS1_30default_config_static_selectorELNS0_4arch9wavefront6targetE0EEEvSM_.num_agpr, 0
	.set _ZN7rocprim17ROCPRIM_400000_NS6detail17trampoline_kernelINS0_14default_configENS1_22reduce_config_selectorIfEEZNS1_11reduce_implILb1ES3_N6thrust23THRUST_200600_302600_NS11hip_rocprim26transform_input_iterator_tIfNS8_17counting_iteratorIiNS8_11use_defaultESC_SC_EE11estimate_piEEPffNS8_4plusIfEEEE10hipError_tPvRmT1_T2_T3_mT4_P12ihipStream_tbEUlT_E0_NS1_11comp_targetILNS1_3genE9ELNS1_11target_archE1100ELNS1_3gpuE3ELNS1_3repE0EEENS1_30default_config_static_selectorELNS0_4arch9wavefront6targetE0EEEvSM_.numbered_sgpr, 0
	.set _ZN7rocprim17ROCPRIM_400000_NS6detail17trampoline_kernelINS0_14default_configENS1_22reduce_config_selectorIfEEZNS1_11reduce_implILb1ES3_N6thrust23THRUST_200600_302600_NS11hip_rocprim26transform_input_iterator_tIfNS8_17counting_iteratorIiNS8_11use_defaultESC_SC_EE11estimate_piEEPffNS8_4plusIfEEEE10hipError_tPvRmT1_T2_T3_mT4_P12ihipStream_tbEUlT_E0_NS1_11comp_targetILNS1_3genE9ELNS1_11target_archE1100ELNS1_3gpuE3ELNS1_3repE0EEENS1_30default_config_static_selectorELNS0_4arch9wavefront6targetE0EEEvSM_.num_named_barrier, 0
	.set _ZN7rocprim17ROCPRIM_400000_NS6detail17trampoline_kernelINS0_14default_configENS1_22reduce_config_selectorIfEEZNS1_11reduce_implILb1ES3_N6thrust23THRUST_200600_302600_NS11hip_rocprim26transform_input_iterator_tIfNS8_17counting_iteratorIiNS8_11use_defaultESC_SC_EE11estimate_piEEPffNS8_4plusIfEEEE10hipError_tPvRmT1_T2_T3_mT4_P12ihipStream_tbEUlT_E0_NS1_11comp_targetILNS1_3genE9ELNS1_11target_archE1100ELNS1_3gpuE3ELNS1_3repE0EEENS1_30default_config_static_selectorELNS0_4arch9wavefront6targetE0EEEvSM_.private_seg_size, 0
	.set _ZN7rocprim17ROCPRIM_400000_NS6detail17trampoline_kernelINS0_14default_configENS1_22reduce_config_selectorIfEEZNS1_11reduce_implILb1ES3_N6thrust23THRUST_200600_302600_NS11hip_rocprim26transform_input_iterator_tIfNS8_17counting_iteratorIiNS8_11use_defaultESC_SC_EE11estimate_piEEPffNS8_4plusIfEEEE10hipError_tPvRmT1_T2_T3_mT4_P12ihipStream_tbEUlT_E0_NS1_11comp_targetILNS1_3genE9ELNS1_11target_archE1100ELNS1_3gpuE3ELNS1_3repE0EEENS1_30default_config_static_selectorELNS0_4arch9wavefront6targetE0EEEvSM_.uses_vcc, 0
	.set _ZN7rocprim17ROCPRIM_400000_NS6detail17trampoline_kernelINS0_14default_configENS1_22reduce_config_selectorIfEEZNS1_11reduce_implILb1ES3_N6thrust23THRUST_200600_302600_NS11hip_rocprim26transform_input_iterator_tIfNS8_17counting_iteratorIiNS8_11use_defaultESC_SC_EE11estimate_piEEPffNS8_4plusIfEEEE10hipError_tPvRmT1_T2_T3_mT4_P12ihipStream_tbEUlT_E0_NS1_11comp_targetILNS1_3genE9ELNS1_11target_archE1100ELNS1_3gpuE3ELNS1_3repE0EEENS1_30default_config_static_selectorELNS0_4arch9wavefront6targetE0EEEvSM_.uses_flat_scratch, 0
	.set _ZN7rocprim17ROCPRIM_400000_NS6detail17trampoline_kernelINS0_14default_configENS1_22reduce_config_selectorIfEEZNS1_11reduce_implILb1ES3_N6thrust23THRUST_200600_302600_NS11hip_rocprim26transform_input_iterator_tIfNS8_17counting_iteratorIiNS8_11use_defaultESC_SC_EE11estimate_piEEPffNS8_4plusIfEEEE10hipError_tPvRmT1_T2_T3_mT4_P12ihipStream_tbEUlT_E0_NS1_11comp_targetILNS1_3genE9ELNS1_11target_archE1100ELNS1_3gpuE3ELNS1_3repE0EEENS1_30default_config_static_selectorELNS0_4arch9wavefront6targetE0EEEvSM_.has_dyn_sized_stack, 0
	.set _ZN7rocprim17ROCPRIM_400000_NS6detail17trampoline_kernelINS0_14default_configENS1_22reduce_config_selectorIfEEZNS1_11reduce_implILb1ES3_N6thrust23THRUST_200600_302600_NS11hip_rocprim26transform_input_iterator_tIfNS8_17counting_iteratorIiNS8_11use_defaultESC_SC_EE11estimate_piEEPffNS8_4plusIfEEEE10hipError_tPvRmT1_T2_T3_mT4_P12ihipStream_tbEUlT_E0_NS1_11comp_targetILNS1_3genE9ELNS1_11target_archE1100ELNS1_3gpuE3ELNS1_3repE0EEENS1_30default_config_static_selectorELNS0_4arch9wavefront6targetE0EEEvSM_.has_recursion, 0
	.set _ZN7rocprim17ROCPRIM_400000_NS6detail17trampoline_kernelINS0_14default_configENS1_22reduce_config_selectorIfEEZNS1_11reduce_implILb1ES3_N6thrust23THRUST_200600_302600_NS11hip_rocprim26transform_input_iterator_tIfNS8_17counting_iteratorIiNS8_11use_defaultESC_SC_EE11estimate_piEEPffNS8_4plusIfEEEE10hipError_tPvRmT1_T2_T3_mT4_P12ihipStream_tbEUlT_E0_NS1_11comp_targetILNS1_3genE9ELNS1_11target_archE1100ELNS1_3gpuE3ELNS1_3repE0EEENS1_30default_config_static_selectorELNS0_4arch9wavefront6targetE0EEEvSM_.has_indirect_call, 0
	.section	.AMDGPU.csdata,"",@progbits
; Kernel info:
; codeLenInByte = 0
; TotalNumSgprs: 0
; NumVgprs: 0
; ScratchSize: 0
; MemoryBound: 0
; FloatMode: 240
; IeeeMode: 1
; LDSByteSize: 0 bytes/workgroup (compile time only)
; SGPRBlocks: 0
; VGPRBlocks: 0
; NumSGPRsForWavesPerEU: 1
; NumVGPRsForWavesPerEU: 1
; NamedBarCnt: 0
; Occupancy: 16
; WaveLimiterHint : 0
; COMPUTE_PGM_RSRC2:SCRATCH_EN: 0
; COMPUTE_PGM_RSRC2:USER_SGPR: 2
; COMPUTE_PGM_RSRC2:TRAP_HANDLER: 0
; COMPUTE_PGM_RSRC2:TGID_X_EN: 1
; COMPUTE_PGM_RSRC2:TGID_Y_EN: 0
; COMPUTE_PGM_RSRC2:TGID_Z_EN: 0
; COMPUTE_PGM_RSRC2:TIDIG_COMP_CNT: 0
	.section	.text._ZN7rocprim17ROCPRIM_400000_NS6detail17trampoline_kernelINS0_14default_configENS1_22reduce_config_selectorIfEEZNS1_11reduce_implILb1ES3_N6thrust23THRUST_200600_302600_NS11hip_rocprim26transform_input_iterator_tIfNS8_17counting_iteratorIiNS8_11use_defaultESC_SC_EE11estimate_piEEPffNS8_4plusIfEEEE10hipError_tPvRmT1_T2_T3_mT4_P12ihipStream_tbEUlT_E0_NS1_11comp_targetILNS1_3genE8ELNS1_11target_archE1030ELNS1_3gpuE2ELNS1_3repE0EEENS1_30default_config_static_selectorELNS0_4arch9wavefront6targetE0EEEvSM_,"axG",@progbits,_ZN7rocprim17ROCPRIM_400000_NS6detail17trampoline_kernelINS0_14default_configENS1_22reduce_config_selectorIfEEZNS1_11reduce_implILb1ES3_N6thrust23THRUST_200600_302600_NS11hip_rocprim26transform_input_iterator_tIfNS8_17counting_iteratorIiNS8_11use_defaultESC_SC_EE11estimate_piEEPffNS8_4plusIfEEEE10hipError_tPvRmT1_T2_T3_mT4_P12ihipStream_tbEUlT_E0_NS1_11comp_targetILNS1_3genE8ELNS1_11target_archE1030ELNS1_3gpuE2ELNS1_3repE0EEENS1_30default_config_static_selectorELNS0_4arch9wavefront6targetE0EEEvSM_,comdat
	.protected	_ZN7rocprim17ROCPRIM_400000_NS6detail17trampoline_kernelINS0_14default_configENS1_22reduce_config_selectorIfEEZNS1_11reduce_implILb1ES3_N6thrust23THRUST_200600_302600_NS11hip_rocprim26transform_input_iterator_tIfNS8_17counting_iteratorIiNS8_11use_defaultESC_SC_EE11estimate_piEEPffNS8_4plusIfEEEE10hipError_tPvRmT1_T2_T3_mT4_P12ihipStream_tbEUlT_E0_NS1_11comp_targetILNS1_3genE8ELNS1_11target_archE1030ELNS1_3gpuE2ELNS1_3repE0EEENS1_30default_config_static_selectorELNS0_4arch9wavefront6targetE0EEEvSM_ ; -- Begin function _ZN7rocprim17ROCPRIM_400000_NS6detail17trampoline_kernelINS0_14default_configENS1_22reduce_config_selectorIfEEZNS1_11reduce_implILb1ES3_N6thrust23THRUST_200600_302600_NS11hip_rocprim26transform_input_iterator_tIfNS8_17counting_iteratorIiNS8_11use_defaultESC_SC_EE11estimate_piEEPffNS8_4plusIfEEEE10hipError_tPvRmT1_T2_T3_mT4_P12ihipStream_tbEUlT_E0_NS1_11comp_targetILNS1_3genE8ELNS1_11target_archE1030ELNS1_3gpuE2ELNS1_3repE0EEENS1_30default_config_static_selectorELNS0_4arch9wavefront6targetE0EEEvSM_
	.globl	_ZN7rocprim17ROCPRIM_400000_NS6detail17trampoline_kernelINS0_14default_configENS1_22reduce_config_selectorIfEEZNS1_11reduce_implILb1ES3_N6thrust23THRUST_200600_302600_NS11hip_rocprim26transform_input_iterator_tIfNS8_17counting_iteratorIiNS8_11use_defaultESC_SC_EE11estimate_piEEPffNS8_4plusIfEEEE10hipError_tPvRmT1_T2_T3_mT4_P12ihipStream_tbEUlT_E0_NS1_11comp_targetILNS1_3genE8ELNS1_11target_archE1030ELNS1_3gpuE2ELNS1_3repE0EEENS1_30default_config_static_selectorELNS0_4arch9wavefront6targetE0EEEvSM_
	.p2align	8
	.type	_ZN7rocprim17ROCPRIM_400000_NS6detail17trampoline_kernelINS0_14default_configENS1_22reduce_config_selectorIfEEZNS1_11reduce_implILb1ES3_N6thrust23THRUST_200600_302600_NS11hip_rocprim26transform_input_iterator_tIfNS8_17counting_iteratorIiNS8_11use_defaultESC_SC_EE11estimate_piEEPffNS8_4plusIfEEEE10hipError_tPvRmT1_T2_T3_mT4_P12ihipStream_tbEUlT_E0_NS1_11comp_targetILNS1_3genE8ELNS1_11target_archE1030ELNS1_3gpuE2ELNS1_3repE0EEENS1_30default_config_static_selectorELNS0_4arch9wavefront6targetE0EEEvSM_,@function
_ZN7rocprim17ROCPRIM_400000_NS6detail17trampoline_kernelINS0_14default_configENS1_22reduce_config_selectorIfEEZNS1_11reduce_implILb1ES3_N6thrust23THRUST_200600_302600_NS11hip_rocprim26transform_input_iterator_tIfNS8_17counting_iteratorIiNS8_11use_defaultESC_SC_EE11estimate_piEEPffNS8_4plusIfEEEE10hipError_tPvRmT1_T2_T3_mT4_P12ihipStream_tbEUlT_E0_NS1_11comp_targetILNS1_3genE8ELNS1_11target_archE1030ELNS1_3gpuE2ELNS1_3repE0EEENS1_30default_config_static_selectorELNS0_4arch9wavefront6targetE0EEEvSM_: ; @_ZN7rocprim17ROCPRIM_400000_NS6detail17trampoline_kernelINS0_14default_configENS1_22reduce_config_selectorIfEEZNS1_11reduce_implILb1ES3_N6thrust23THRUST_200600_302600_NS11hip_rocprim26transform_input_iterator_tIfNS8_17counting_iteratorIiNS8_11use_defaultESC_SC_EE11estimate_piEEPffNS8_4plusIfEEEE10hipError_tPvRmT1_T2_T3_mT4_P12ihipStream_tbEUlT_E0_NS1_11comp_targetILNS1_3genE8ELNS1_11target_archE1030ELNS1_3gpuE2ELNS1_3repE0EEENS1_30default_config_static_selectorELNS0_4arch9wavefront6targetE0EEEvSM_
; %bb.0:
	.section	.rodata,"a",@progbits
	.p2align	6, 0x0
	.amdhsa_kernel _ZN7rocprim17ROCPRIM_400000_NS6detail17trampoline_kernelINS0_14default_configENS1_22reduce_config_selectorIfEEZNS1_11reduce_implILb1ES3_N6thrust23THRUST_200600_302600_NS11hip_rocprim26transform_input_iterator_tIfNS8_17counting_iteratorIiNS8_11use_defaultESC_SC_EE11estimate_piEEPffNS8_4plusIfEEEE10hipError_tPvRmT1_T2_T3_mT4_P12ihipStream_tbEUlT_E0_NS1_11comp_targetILNS1_3genE8ELNS1_11target_archE1030ELNS1_3gpuE2ELNS1_3repE0EEENS1_30default_config_static_selectorELNS0_4arch9wavefront6targetE0EEEvSM_
		.amdhsa_group_segment_fixed_size 0
		.amdhsa_private_segment_fixed_size 0
		.amdhsa_kernarg_size 56
		.amdhsa_user_sgpr_count 2
		.amdhsa_user_sgpr_dispatch_ptr 0
		.amdhsa_user_sgpr_queue_ptr 0
		.amdhsa_user_sgpr_kernarg_segment_ptr 1
		.amdhsa_user_sgpr_dispatch_id 0
		.amdhsa_user_sgpr_kernarg_preload_length 0
		.amdhsa_user_sgpr_kernarg_preload_offset 0
		.amdhsa_user_sgpr_private_segment_size 0
		.amdhsa_wavefront_size32 1
		.amdhsa_uses_dynamic_stack 0
		.amdhsa_enable_private_segment 0
		.amdhsa_system_sgpr_workgroup_id_x 1
		.amdhsa_system_sgpr_workgroup_id_y 0
		.amdhsa_system_sgpr_workgroup_id_z 0
		.amdhsa_system_sgpr_workgroup_info 0
		.amdhsa_system_vgpr_workitem_id 0
		.amdhsa_next_free_vgpr 1
		.amdhsa_next_free_sgpr 1
		.amdhsa_named_barrier_count 0
		.amdhsa_reserve_vcc 0
		.amdhsa_float_round_mode_32 0
		.amdhsa_float_round_mode_16_64 0
		.amdhsa_float_denorm_mode_32 3
		.amdhsa_float_denorm_mode_16_64 3
		.amdhsa_fp16_overflow 0
		.amdhsa_memory_ordered 1
		.amdhsa_forward_progress 1
		.amdhsa_inst_pref_size 0
		.amdhsa_round_robin_scheduling 0
		.amdhsa_exception_fp_ieee_invalid_op 0
		.amdhsa_exception_fp_denorm_src 0
		.amdhsa_exception_fp_ieee_div_zero 0
		.amdhsa_exception_fp_ieee_overflow 0
		.amdhsa_exception_fp_ieee_underflow 0
		.amdhsa_exception_fp_ieee_inexact 0
		.amdhsa_exception_int_div_zero 0
	.end_amdhsa_kernel
	.section	.text._ZN7rocprim17ROCPRIM_400000_NS6detail17trampoline_kernelINS0_14default_configENS1_22reduce_config_selectorIfEEZNS1_11reduce_implILb1ES3_N6thrust23THRUST_200600_302600_NS11hip_rocprim26transform_input_iterator_tIfNS8_17counting_iteratorIiNS8_11use_defaultESC_SC_EE11estimate_piEEPffNS8_4plusIfEEEE10hipError_tPvRmT1_T2_T3_mT4_P12ihipStream_tbEUlT_E0_NS1_11comp_targetILNS1_3genE8ELNS1_11target_archE1030ELNS1_3gpuE2ELNS1_3repE0EEENS1_30default_config_static_selectorELNS0_4arch9wavefront6targetE0EEEvSM_,"axG",@progbits,_ZN7rocprim17ROCPRIM_400000_NS6detail17trampoline_kernelINS0_14default_configENS1_22reduce_config_selectorIfEEZNS1_11reduce_implILb1ES3_N6thrust23THRUST_200600_302600_NS11hip_rocprim26transform_input_iterator_tIfNS8_17counting_iteratorIiNS8_11use_defaultESC_SC_EE11estimate_piEEPffNS8_4plusIfEEEE10hipError_tPvRmT1_T2_T3_mT4_P12ihipStream_tbEUlT_E0_NS1_11comp_targetILNS1_3genE8ELNS1_11target_archE1030ELNS1_3gpuE2ELNS1_3repE0EEENS1_30default_config_static_selectorELNS0_4arch9wavefront6targetE0EEEvSM_,comdat
.Lfunc_end26:
	.size	_ZN7rocprim17ROCPRIM_400000_NS6detail17trampoline_kernelINS0_14default_configENS1_22reduce_config_selectorIfEEZNS1_11reduce_implILb1ES3_N6thrust23THRUST_200600_302600_NS11hip_rocprim26transform_input_iterator_tIfNS8_17counting_iteratorIiNS8_11use_defaultESC_SC_EE11estimate_piEEPffNS8_4plusIfEEEE10hipError_tPvRmT1_T2_T3_mT4_P12ihipStream_tbEUlT_E0_NS1_11comp_targetILNS1_3genE8ELNS1_11target_archE1030ELNS1_3gpuE2ELNS1_3repE0EEENS1_30default_config_static_selectorELNS0_4arch9wavefront6targetE0EEEvSM_, .Lfunc_end26-_ZN7rocprim17ROCPRIM_400000_NS6detail17trampoline_kernelINS0_14default_configENS1_22reduce_config_selectorIfEEZNS1_11reduce_implILb1ES3_N6thrust23THRUST_200600_302600_NS11hip_rocprim26transform_input_iterator_tIfNS8_17counting_iteratorIiNS8_11use_defaultESC_SC_EE11estimate_piEEPffNS8_4plusIfEEEE10hipError_tPvRmT1_T2_T3_mT4_P12ihipStream_tbEUlT_E0_NS1_11comp_targetILNS1_3genE8ELNS1_11target_archE1030ELNS1_3gpuE2ELNS1_3repE0EEENS1_30default_config_static_selectorELNS0_4arch9wavefront6targetE0EEEvSM_
                                        ; -- End function
	.set _ZN7rocprim17ROCPRIM_400000_NS6detail17trampoline_kernelINS0_14default_configENS1_22reduce_config_selectorIfEEZNS1_11reduce_implILb1ES3_N6thrust23THRUST_200600_302600_NS11hip_rocprim26transform_input_iterator_tIfNS8_17counting_iteratorIiNS8_11use_defaultESC_SC_EE11estimate_piEEPffNS8_4plusIfEEEE10hipError_tPvRmT1_T2_T3_mT4_P12ihipStream_tbEUlT_E0_NS1_11comp_targetILNS1_3genE8ELNS1_11target_archE1030ELNS1_3gpuE2ELNS1_3repE0EEENS1_30default_config_static_selectorELNS0_4arch9wavefront6targetE0EEEvSM_.num_vgpr, 0
	.set _ZN7rocprim17ROCPRIM_400000_NS6detail17trampoline_kernelINS0_14default_configENS1_22reduce_config_selectorIfEEZNS1_11reduce_implILb1ES3_N6thrust23THRUST_200600_302600_NS11hip_rocprim26transform_input_iterator_tIfNS8_17counting_iteratorIiNS8_11use_defaultESC_SC_EE11estimate_piEEPffNS8_4plusIfEEEE10hipError_tPvRmT1_T2_T3_mT4_P12ihipStream_tbEUlT_E0_NS1_11comp_targetILNS1_3genE8ELNS1_11target_archE1030ELNS1_3gpuE2ELNS1_3repE0EEENS1_30default_config_static_selectorELNS0_4arch9wavefront6targetE0EEEvSM_.num_agpr, 0
	.set _ZN7rocprim17ROCPRIM_400000_NS6detail17trampoline_kernelINS0_14default_configENS1_22reduce_config_selectorIfEEZNS1_11reduce_implILb1ES3_N6thrust23THRUST_200600_302600_NS11hip_rocprim26transform_input_iterator_tIfNS8_17counting_iteratorIiNS8_11use_defaultESC_SC_EE11estimate_piEEPffNS8_4plusIfEEEE10hipError_tPvRmT1_T2_T3_mT4_P12ihipStream_tbEUlT_E0_NS1_11comp_targetILNS1_3genE8ELNS1_11target_archE1030ELNS1_3gpuE2ELNS1_3repE0EEENS1_30default_config_static_selectorELNS0_4arch9wavefront6targetE0EEEvSM_.numbered_sgpr, 0
	.set _ZN7rocprim17ROCPRIM_400000_NS6detail17trampoline_kernelINS0_14default_configENS1_22reduce_config_selectorIfEEZNS1_11reduce_implILb1ES3_N6thrust23THRUST_200600_302600_NS11hip_rocprim26transform_input_iterator_tIfNS8_17counting_iteratorIiNS8_11use_defaultESC_SC_EE11estimate_piEEPffNS8_4plusIfEEEE10hipError_tPvRmT1_T2_T3_mT4_P12ihipStream_tbEUlT_E0_NS1_11comp_targetILNS1_3genE8ELNS1_11target_archE1030ELNS1_3gpuE2ELNS1_3repE0EEENS1_30default_config_static_selectorELNS0_4arch9wavefront6targetE0EEEvSM_.num_named_barrier, 0
	.set _ZN7rocprim17ROCPRIM_400000_NS6detail17trampoline_kernelINS0_14default_configENS1_22reduce_config_selectorIfEEZNS1_11reduce_implILb1ES3_N6thrust23THRUST_200600_302600_NS11hip_rocprim26transform_input_iterator_tIfNS8_17counting_iteratorIiNS8_11use_defaultESC_SC_EE11estimate_piEEPffNS8_4plusIfEEEE10hipError_tPvRmT1_T2_T3_mT4_P12ihipStream_tbEUlT_E0_NS1_11comp_targetILNS1_3genE8ELNS1_11target_archE1030ELNS1_3gpuE2ELNS1_3repE0EEENS1_30default_config_static_selectorELNS0_4arch9wavefront6targetE0EEEvSM_.private_seg_size, 0
	.set _ZN7rocprim17ROCPRIM_400000_NS6detail17trampoline_kernelINS0_14default_configENS1_22reduce_config_selectorIfEEZNS1_11reduce_implILb1ES3_N6thrust23THRUST_200600_302600_NS11hip_rocprim26transform_input_iterator_tIfNS8_17counting_iteratorIiNS8_11use_defaultESC_SC_EE11estimate_piEEPffNS8_4plusIfEEEE10hipError_tPvRmT1_T2_T3_mT4_P12ihipStream_tbEUlT_E0_NS1_11comp_targetILNS1_3genE8ELNS1_11target_archE1030ELNS1_3gpuE2ELNS1_3repE0EEENS1_30default_config_static_selectorELNS0_4arch9wavefront6targetE0EEEvSM_.uses_vcc, 0
	.set _ZN7rocprim17ROCPRIM_400000_NS6detail17trampoline_kernelINS0_14default_configENS1_22reduce_config_selectorIfEEZNS1_11reduce_implILb1ES3_N6thrust23THRUST_200600_302600_NS11hip_rocprim26transform_input_iterator_tIfNS8_17counting_iteratorIiNS8_11use_defaultESC_SC_EE11estimate_piEEPffNS8_4plusIfEEEE10hipError_tPvRmT1_T2_T3_mT4_P12ihipStream_tbEUlT_E0_NS1_11comp_targetILNS1_3genE8ELNS1_11target_archE1030ELNS1_3gpuE2ELNS1_3repE0EEENS1_30default_config_static_selectorELNS0_4arch9wavefront6targetE0EEEvSM_.uses_flat_scratch, 0
	.set _ZN7rocprim17ROCPRIM_400000_NS6detail17trampoline_kernelINS0_14default_configENS1_22reduce_config_selectorIfEEZNS1_11reduce_implILb1ES3_N6thrust23THRUST_200600_302600_NS11hip_rocprim26transform_input_iterator_tIfNS8_17counting_iteratorIiNS8_11use_defaultESC_SC_EE11estimate_piEEPffNS8_4plusIfEEEE10hipError_tPvRmT1_T2_T3_mT4_P12ihipStream_tbEUlT_E0_NS1_11comp_targetILNS1_3genE8ELNS1_11target_archE1030ELNS1_3gpuE2ELNS1_3repE0EEENS1_30default_config_static_selectorELNS0_4arch9wavefront6targetE0EEEvSM_.has_dyn_sized_stack, 0
	.set _ZN7rocprim17ROCPRIM_400000_NS6detail17trampoline_kernelINS0_14default_configENS1_22reduce_config_selectorIfEEZNS1_11reduce_implILb1ES3_N6thrust23THRUST_200600_302600_NS11hip_rocprim26transform_input_iterator_tIfNS8_17counting_iteratorIiNS8_11use_defaultESC_SC_EE11estimate_piEEPffNS8_4plusIfEEEE10hipError_tPvRmT1_T2_T3_mT4_P12ihipStream_tbEUlT_E0_NS1_11comp_targetILNS1_3genE8ELNS1_11target_archE1030ELNS1_3gpuE2ELNS1_3repE0EEENS1_30default_config_static_selectorELNS0_4arch9wavefront6targetE0EEEvSM_.has_recursion, 0
	.set _ZN7rocprim17ROCPRIM_400000_NS6detail17trampoline_kernelINS0_14default_configENS1_22reduce_config_selectorIfEEZNS1_11reduce_implILb1ES3_N6thrust23THRUST_200600_302600_NS11hip_rocprim26transform_input_iterator_tIfNS8_17counting_iteratorIiNS8_11use_defaultESC_SC_EE11estimate_piEEPffNS8_4plusIfEEEE10hipError_tPvRmT1_T2_T3_mT4_P12ihipStream_tbEUlT_E0_NS1_11comp_targetILNS1_3genE8ELNS1_11target_archE1030ELNS1_3gpuE2ELNS1_3repE0EEENS1_30default_config_static_selectorELNS0_4arch9wavefront6targetE0EEEvSM_.has_indirect_call, 0
	.section	.AMDGPU.csdata,"",@progbits
; Kernel info:
; codeLenInByte = 0
; TotalNumSgprs: 0
; NumVgprs: 0
; ScratchSize: 0
; MemoryBound: 0
; FloatMode: 240
; IeeeMode: 1
; LDSByteSize: 0 bytes/workgroup (compile time only)
; SGPRBlocks: 0
; VGPRBlocks: 0
; NumSGPRsForWavesPerEU: 1
; NumVGPRsForWavesPerEU: 1
; NamedBarCnt: 0
; Occupancy: 16
; WaveLimiterHint : 0
; COMPUTE_PGM_RSRC2:SCRATCH_EN: 0
; COMPUTE_PGM_RSRC2:USER_SGPR: 2
; COMPUTE_PGM_RSRC2:TRAP_HANDLER: 0
; COMPUTE_PGM_RSRC2:TGID_X_EN: 1
; COMPUTE_PGM_RSRC2:TGID_Y_EN: 0
; COMPUTE_PGM_RSRC2:TGID_Z_EN: 0
; COMPUTE_PGM_RSRC2:TIDIG_COMP_CNT: 0
	.text
	.p2align	2                               ; -- Begin function _ZN7rocprim17ROCPRIM_400000_NS6detail18constexpr_for_implIZZNS1_11reduce_implILb1ENS0_14default_configEN6thrust23THRUST_200600_302600_NS11hip_rocprim26transform_input_iterator_tIfNS6_17counting_iteratorIiNS6_11use_defaultESA_SA_EE11estimate_piEEPffNS6_4plusIfEEEE10hipError_tPvRmT1_T2_T3_mT4_P12ihipStream_tbENUlT_E1_clINS1_13target_configIS4_NS1_22reduce_config_selectorIfEENS1_11comp_targetILNS1_3genE0ELNS1_11target_archE4294967295ELNS1_3gpuE0ELNS1_3repE0EEELNS0_4arch9wavefront6targetE0EEEEEDaSQ_EUlSQ_E_TnDaLi0ETnDaLi1EJLm0ELm1ELm2ELm3ELm4ELm5EEEEvOSQ_St16integer_sequenceImJXspT2_EEE
	.type	_ZN7rocprim17ROCPRIM_400000_NS6detail18constexpr_for_implIZZNS1_11reduce_implILb1ENS0_14default_configEN6thrust23THRUST_200600_302600_NS11hip_rocprim26transform_input_iterator_tIfNS6_17counting_iteratorIiNS6_11use_defaultESA_SA_EE11estimate_piEEPffNS6_4plusIfEEEE10hipError_tPvRmT1_T2_T3_mT4_P12ihipStream_tbENUlT_E1_clINS1_13target_configIS4_NS1_22reduce_config_selectorIfEENS1_11comp_targetILNS1_3genE0ELNS1_11target_archE4294967295ELNS1_3gpuE0ELNS1_3repE0EEELNS0_4arch9wavefront6targetE0EEEEEDaSQ_EUlSQ_E_TnDaLi0ETnDaLi1EJLm0ELm1ELm2ELm3ELm4ELm5EEEEvOSQ_St16integer_sequenceImJXspT2_EEE,@function
_ZN7rocprim17ROCPRIM_400000_NS6detail18constexpr_for_implIZZNS1_11reduce_implILb1ENS0_14default_configEN6thrust23THRUST_200600_302600_NS11hip_rocprim26transform_input_iterator_tIfNS6_17counting_iteratorIiNS6_11use_defaultESA_SA_EE11estimate_piEEPffNS6_4plusIfEEEE10hipError_tPvRmT1_T2_T3_mT4_P12ihipStream_tbENUlT_E1_clINS1_13target_configIS4_NS1_22reduce_config_selectorIfEENS1_11comp_targetILNS1_3genE0ELNS1_11target_archE4294967295ELNS1_3gpuE0ELNS1_3repE0EEELNS0_4arch9wavefront6targetE0EEEEEDaSQ_EUlSQ_E_TnDaLi0ETnDaLi1EJLm0ELm1ELm2ELm3ELm4ELm5EEEEvOSQ_St16integer_sequenceImJXspT2_EEE: ; @_ZN7rocprim17ROCPRIM_400000_NS6detail18constexpr_for_implIZZNS1_11reduce_implILb1ENS0_14default_configEN6thrust23THRUST_200600_302600_NS11hip_rocprim26transform_input_iterator_tIfNS6_17counting_iteratorIiNS6_11use_defaultESA_SA_EE11estimate_piEEPffNS6_4plusIfEEEE10hipError_tPvRmT1_T2_T3_mT4_P12ihipStream_tbENUlT_E1_clINS1_13target_configIS4_NS1_22reduce_config_selectorIfEENS1_11comp_targetILNS1_3genE0ELNS1_11target_archE4294967295ELNS1_3gpuE0ELNS1_3repE0EEELNS0_4arch9wavefront6targetE0EEEEEDaSQ_EUlSQ_E_TnDaLi0ETnDaLi1EJLm0ELm1ELm2ELm3ELm4ELm5EEEEvOSQ_St16integer_sequenceImJXspT2_EEE
; %bb.0:
	s_wait_loadcnt_dscnt 0x0
	s_wait_kmcnt 0x0
	flat_load_b64 v[2:3], v[0:1]
	v_and_b32_e32 v50, 0x3ff, v31
	s_getreg_b32 s28, hwreg(HW_REG_IB_STS2, 6, 4)
	s_mov_b32 s12, exec_lo
	s_wait_loadcnt_dscnt 0x0
	flat_load_b32 v2, v[2:3]
	s_wait_loadcnt_dscnt 0x0
	v_cmpx_eq_u32_e32 1, v2
	s_cbranch_execz .LBB27_5
; %bb.1:
	s_clause 0x1
	flat_load_b128 v[8:11], v[0:1] offset:8
	flat_load_b128 v[14:17], v[0:1] offset:24
	s_bfe_u32 s0, ttmp6, 0x4000c
	s_and_b32 s1, ttmp6, 15
	s_add_co_i32 s0, s0, 1
	s_mov_b32 s3, 0
	s_mul_i32 s0, ttmp9, s0
                                        ; implicit-def: $vgpr7
	s_wait_loadcnt_dscnt 0x101
	flat_load_b64 v[2:3], v[10:11]
	flat_load_b32 v6, v[8:9]
	s_wait_loadcnt_dscnt 0x202
	flat_load_b64 v[4:5], v[14:15]
	flat_load_b32 v12, v[16:17]
	s_add_co_i32 s1, s1, s0
	s_cmp_eq_u32 s28, 0
	s_mov_b32 s0, exec_lo
	s_cselect_b32 s2, ttmp9, s1
	s_delay_alu instid0(SALU_CYCLE_1) | instskip(SKIP_4) | instid1(VALU_DEP_1)
	s_lshl_b32 s14, s2, 8
	s_wait_loadcnt_dscnt 0x303
	s_wait_xcnt 0x2
	v_lshrrev_b64 v[8:9], 8, v[2:3]
	s_wait_xcnt 0x0
	v_cmpx_ne_u64_e64 s[2:3], v[8:9]
	s_xor_b32 s13, exec_lo, s0
	s_cbranch_execnz .LBB27_31
; %bb.2:
	s_and_not1_saveexec_b32 s13, s13
	s_cbranch_execnz .LBB27_69
.LBB27_3:
	s_or_b32 exec_lo, exec_lo, s13
	v_cmp_eq_u32_e32 vcc_lo, 0, v50
	s_and_b32 exec_lo, exec_lo, vcc_lo
	s_cbranch_execz .LBB27_5
.LBB27_4:
	v_cmp_eq_u64_e32 vcc_lo, 0, v[2:3]
	s_wait_loadcnt_dscnt 0x0
	v_add_f32_e32 v6, v12, v7
	v_lshl_add_u64 v[2:3], s[2:3], 2, v[4:5]
	s_delay_alu instid0(VALU_DEP_2)
	v_cndmask_b32_e32 v6, v6, v12, vcc_lo
	flat_store_b32 v[2:3], v6
.LBB27_5:
	s_wait_xcnt 0x0
	s_or_b32 exec_lo, exec_lo, s12
	flat_load_b64 v[2:3], v[0:1]
	s_mov_b32 s14, exec_lo
	s_wait_loadcnt_dscnt 0x0
	flat_load_b32 v2, v[2:3]
	s_wait_loadcnt_dscnt 0x0
	v_cmpx_eq_u32_e32 2, v2
	s_cbranch_execz .LBB27_10
; %bb.6:
	s_clause 0x1
	flat_load_b128 v[6:9], v[0:1] offset:8
	flat_load_b128 v[10:13], v[0:1] offset:24
	s_bfe_u32 s0, ttmp6, 0x4000c
	s_and_b32 s1, ttmp6, 15
	s_add_co_i32 s0, s0, 1
	s_mov_b32 s5, 0
	s_mul_i32 s0, ttmp9, s0
	s_wait_loadcnt_dscnt 0x101
	flat_load_b64 v[2:3], v[8:9]
	flat_load_b32 v15, v[6:7]
	s_wait_loadcnt_dscnt 0x202
	flat_load_b64 v[4:5], v[10:11]
	flat_load_b32 v14, v[12:13]
	s_add_co_i32 s1, s1, s0
	s_cmp_eq_u32 s28, 0
	s_cselect_b32 s4, ttmp9, s1
	s_delay_alu instid0(SALU_CYCLE_1)
	s_lshl_b32 s12, s4, 9
	s_wait_loadcnt_dscnt 0x303
	s_wait_xcnt 0x2
	v_lshrrev_b64 v[6:7], 9, v[2:3]
	s_wait_loadcnt_dscnt 0x202
	s_wait_xcnt 0x0
	v_add_nc_u32_e32 v12, s12, v15
	s_delay_alu instid0(VALU_DEP_2) | instskip(SKIP_1) | instid1(SALU_CYCLE_1)
	v_cmp_ne_u64_e32 vcc_lo, s[4:5], v[6:7]
                                        ; implicit-def: $vgpr6
	s_and_saveexec_b32 s0, vcc_lo
	s_xor_b32 s13, exec_lo, s0
	s_cbranch_execnz .LBB27_36
; %bb.7:
	s_and_not1_saveexec_b32 s15, s13
	s_cbranch_execnz .LBB27_123
.LBB27_8:
	s_or_b32 exec_lo, exec_lo, s15
	v_cmp_eq_u32_e32 vcc_lo, 0, v50
	s_and_b32 exec_lo, exec_lo, vcc_lo
	s_cbranch_execz .LBB27_10
.LBB27_9:
	v_cmp_eq_u64_e32 vcc_lo, 0, v[2:3]
	s_wait_loadcnt_dscnt 0x0
	v_add_f32_e32 v6, v14, v6
	v_lshl_add_u64 v[2:3], s[4:5], 2, v[4:5]
	s_delay_alu instid0(VALU_DEP_2)
	v_cndmask_b32_e32 v6, v6, v14, vcc_lo
	flat_store_b32 v[2:3], v6
.LBB27_10:
	s_wait_xcnt 0x0
	s_or_b32 exec_lo, exec_lo, s14
	flat_load_b64 v[2:3], v[0:1]
	s_mov_b32 s16, exec_lo
	s_wait_loadcnt_dscnt 0x0
	flat_load_b32 v2, v[2:3]
	s_wait_loadcnt_dscnt 0x0
	v_cmpx_eq_u32_e32 4, v2
	s_cbranch_execz .LBB27_15
; %bb.11:
	s_clause 0x1
	flat_load_b128 v[2:5], v[0:1] offset:8
	flat_load_b128 v[10:13], v[0:1] offset:24
	s_bfe_u32 s0, ttmp6, 0x4000c
	s_and_b32 s1, ttmp6, 15
	s_add_co_i32 s0, s0, 1
	s_mov_b32 s7, 0
	s_mul_i32 s0, ttmp9, s0
	s_wait_loadcnt_dscnt 0x101
	flat_load_b64 v[6:7], v[4:5]
	flat_load_b32 v14, v[2:3]
	s_wait_loadcnt_dscnt 0x202
	flat_load_b64 v[8:9], v[10:11]
	flat_load_b32 v16, v[12:13]
	s_add_co_i32 s1, s1, s0
	s_cmp_eq_u32 s28, 0
	s_cselect_b32 s6, ttmp9, s1
	s_delay_alu instid0(SALU_CYCLE_1)
	s_lshl_b32 s12, s6, 10
	s_wait_loadcnt_dscnt 0x303
	s_wait_xcnt 0x2
	v_lshrrev_b64 v[2:3], 10, v[6:7]
	s_wait_loadcnt_dscnt 0x202
	v_add_nc_u32_e32 v18, s12, v14
	s_delay_alu instid0(VALU_DEP_2) | instskip(SKIP_2) | instid1(SALU_CYCLE_1)
	v_cmp_ne_u64_e32 vcc_lo, s[6:7], v[2:3]
                                        ; implicit-def: $vgpr3
	s_wait_xcnt 0x0
	s_and_saveexec_b32 s0, vcc_lo
	s_xor_b32 s13, exec_lo, s0
	s_cbranch_execnz .LBB27_41
; %bb.12:
	s_and_not1_saveexec_b32 s17, s13
	s_cbranch_execnz .LBB27_201
.LBB27_13:
	s_or_b32 exec_lo, exec_lo, s17
	v_cmp_eq_u32_e32 vcc_lo, 0, v50
	s_and_b32 exec_lo, exec_lo, vcc_lo
	s_cbranch_execz .LBB27_15
.LBB27_14:
	v_cmp_eq_u64_e32 vcc_lo, 0, v[6:7]
	s_wait_loadcnt_dscnt 0x0
	v_add_f32_e32 v2, v16, v3
	s_delay_alu instid0(VALU_DEP_1)
	v_cndmask_b32_e32 v4, v2, v16, vcc_lo
	v_lshl_add_u64 v[2:3], s[6:7], 2, v[8:9]
	flat_store_b32 v[2:3], v4
.LBB27_15:
	s_wait_xcnt 0x0
	s_or_b32 exec_lo, exec_lo, s16
	flat_load_b64 v[2:3], v[0:1]
	s_mov_b32 s20, exec_lo
	s_wait_loadcnt_dscnt 0x0
	flat_load_b32 v2, v[2:3]
	s_wait_loadcnt_dscnt 0x0
	v_cmpx_eq_u32_e32 8, v2
	s_cbranch_execz .LBB27_20
; %bb.16:
	s_clause 0x1
	flat_load_b128 v[2:5], v[0:1] offset:8
	flat_load_b128 v[6:9], v[0:1] offset:24
	s_bfe_u32 s0, ttmp6, 0x4000c
	s_and_b32 s1, ttmp6, 15
	s_add_co_i32 s0, s0, 1
	s_mov_b32 s11, 0
	s_mul_i32 s0, ttmp9, s0
	s_wait_loadcnt_dscnt 0x101
	flat_load_b64 v[10:11], v[4:5]
	flat_load_b32 v14, v[2:3]
	s_wait_loadcnt_dscnt 0x202
	flat_load_b64 v[12:13], v[6:7]
	flat_load_b32 v20, v[8:9]
	s_add_co_i32 s1, s1, s0
	s_cmp_eq_u32 s28, 0
	s_cselect_b32 s10, ttmp9, s1
	s_delay_alu instid0(SALU_CYCLE_1)
	s_lshl_b32 s12, s10, 11
	s_wait_loadcnt_dscnt 0x303
	s_wait_xcnt 0x2
	v_lshrrev_b64 v[2:3], 11, v[10:11]
	s_wait_loadcnt_dscnt 0x202
	v_add_nc_u32_e32 v22, s12, v14
	s_delay_alu instid0(VALU_DEP_2) | instskip(SKIP_2) | instid1(SALU_CYCLE_1)
	v_cmp_ne_u64_e32 vcc_lo, s[10:11], v[2:3]
                                        ; implicit-def: $vgpr3
	s_wait_xcnt 0x0
	s_and_saveexec_b32 s0, vcc_lo
	s_xor_b32 s13, exec_lo, s0
	s_cbranch_execnz .LBB27_46
; %bb.17:
	s_and_not1_saveexec_b32 s21, s13
	s_cbranch_execnz .LBB27_311
.LBB27_18:
	s_or_b32 exec_lo, exec_lo, s21
	v_cmp_eq_u32_e32 vcc_lo, 0, v50
	s_and_b32 exec_lo, exec_lo, vcc_lo
	s_cbranch_execz .LBB27_20
.LBB27_19:
	v_cmp_eq_u64_e32 vcc_lo, 0, v[10:11]
	s_wait_loadcnt_dscnt 0x0
	v_add_f32_e32 v2, v20, v3
	s_delay_alu instid0(VALU_DEP_1)
	v_cndmask_b32_e32 v4, v2, v20, vcc_lo
	v_lshl_add_u64 v[2:3], s[10:11], 2, v[12:13]
	flat_store_b32 v[2:3], v4
.LBB27_20:
	s_wait_xcnt 0x0
	s_or_b32 exec_lo, exec_lo, s20
	flat_load_b64 v[2:3], v[0:1]
	s_mov_b32 s29, exec_lo
	s_wait_loadcnt_dscnt 0x0
	flat_load_b32 v2, v[2:3]
	s_wait_loadcnt_dscnt 0x0
	v_cmpx_eq_u32_e32 16, v2
	s_cbranch_execz .LBB27_25
; %bb.21:
	s_clause 0x1
	flat_load_b128 v[2:5], v[0:1] offset:8
	flat_load_b128 v[6:9], v[0:1] offset:24
	s_bfe_u32 s0, ttmp6, 0x4000c
	s_and_b32 s1, ttmp6, 15
	s_add_co_i32 s0, s0, 1
	s_mov_b32 s19, 0
	s_mul_i32 s0, ttmp9, s0
	s_wait_loadcnt_dscnt 0x101
	flat_load_b64 v[18:19], v[4:5]
	flat_load_b32 v10, v[2:3]
	s_wait_loadcnt_dscnt 0x202
	flat_load_b64 v[20:21], v[6:7]
	flat_load_b32 v28, v[8:9]
	s_add_co_i32 s1, s1, s0
	s_cmp_eq_u32 s28, 0
	s_cselect_b32 s18, ttmp9, s1
	s_delay_alu instid0(SALU_CYCLE_1)
	s_lshl_b32 s10, s18, 12
	s_wait_loadcnt_dscnt 0x303
	s_wait_xcnt 0x2
	v_lshrrev_b64 v[2:3], 12, v[18:19]
	s_wait_loadcnt_dscnt 0x202
	v_add_nc_u32_e32 v30, s10, v10
	s_delay_alu instid0(VALU_DEP_2) | instskip(SKIP_2) | instid1(SALU_CYCLE_1)
	v_cmp_ne_u64_e32 vcc_lo, s[18:19], v[2:3]
                                        ; implicit-def: $vgpr3
	s_wait_xcnt 0x0
	s_and_saveexec_b32 s0, vcc_lo
	s_xor_b32 s11, exec_lo, s0
	s_cbranch_execnz .LBB27_51
; %bb.22:
	s_and_not1_saveexec_b32 s40, s11
	s_cbranch_execnz .LBB27_453
.LBB27_23:
	s_or_b32 exec_lo, exec_lo, s40
	v_cmp_eq_u32_e32 vcc_lo, 0, v50
	s_and_b32 exec_lo, exec_lo, vcc_lo
	s_cbranch_execz .LBB27_25
.LBB27_24:
	v_cmp_eq_u64_e32 vcc_lo, 0, v[18:19]
	s_wait_loadcnt_dscnt 0x0
	v_add_f32_e32 v2, v28, v3
	s_delay_alu instid0(VALU_DEP_1)
	v_cndmask_b32_e32 v4, v2, v28, vcc_lo
	v_lshl_add_u64 v[2:3], s[18:19], 2, v[20:21]
	flat_store_b32 v[2:3], v4
.LBB27_25:
	s_wait_xcnt 0x0
	s_or_b32 exec_lo, exec_lo, s29
	flat_load_b64 v[2:3], v[0:1]
	s_mov_b32 s62, exec_lo
	s_wait_loadcnt_dscnt 0x0
	flat_load_b32 v2, v[2:3]
	s_wait_loadcnt_dscnt 0x0
	v_cmpx_eq_u32_e32 32, v2
	s_cbranch_execz .LBB27_30
; %bb.26:
	s_clause 0x1
	flat_load_b128 v[2:5], v[0:1] offset:8
	flat_load_b128 v[6:9], v[0:1] offset:24
	s_bfe_u32 s0, ttmp6, 0x4000c
	s_and_b32 s1, ttmp6, 15
	s_add_co_i32 s0, s0, 1
	s_mov_b32 s45, 0
	s_mul_i32 s0, ttmp9, s0
	s_wait_loadcnt_dscnt 0x101
	flat_load_b64 v[32:33], v[4:5]
	flat_load_b32 v10, v[2:3]
	s_wait_loadcnt_dscnt 0x202
	flat_load_b64 v[34:35], v[6:7]
	flat_load_b32 v51, v[8:9]
	s_add_co_i32 s1, s1, s0
	s_cmp_eq_u32 s28, 0
	s_cselect_b32 s44, ttmp9, s1
	s_delay_alu instid0(SALU_CYCLE_1)
	s_lshl_b32 s10, s44, 13
	s_wait_loadcnt_dscnt 0x303
	s_wait_xcnt 0x4
	v_lshrrev_b64 v[0:1], 13, v[32:33]
	s_wait_loadcnt_dscnt 0x202
	v_add_nc_u32_e32 v53, s10, v10
	s_delay_alu instid0(VALU_DEP_2) | instskip(SKIP_2) | instid1(SALU_CYCLE_1)
	v_cmp_ne_u64_e32 vcc_lo, s[44:45], v[0:1]
                                        ; implicit-def: $vgpr1
	s_wait_xcnt 0x0
	s_and_saveexec_b32 s0, vcc_lo
	s_xor_b32 s11, exec_lo, s0
	s_cbranch_execnz .LBB27_56
; %bb.27:
	s_and_not1_saveexec_b32 s63, s11
	s_cbranch_execnz .LBB27_595
.LBB27_28:
	s_or_b32 exec_lo, exec_lo, s63
	v_cmp_eq_u32_e32 vcc_lo, 0, v50
	s_and_b32 exec_lo, exec_lo, vcc_lo
	s_cbranch_execz .LBB27_30
.LBB27_29:
	v_cmp_eq_u64_e32 vcc_lo, 0, v[32:33]
	s_wait_loadcnt_dscnt 0x0
	v_add_f32_e32 v0, v51, v1
	s_delay_alu instid0(VALU_DEP_1)
	v_cndmask_b32_e32 v2, v0, v51, vcc_lo
	v_lshl_add_u64 v[0:1], s[44:45], 2, v[34:35]
	flat_store_b32 v[0:1], v2
.LBB27_30:
	s_wait_xcnt 0x0
	s_or_b32 exec_lo, exec_lo, s62
	s_wait_loadcnt_dscnt 0x0
	s_set_pc_i64 s[30:31]
.LBB27_31:
	s_wait_loadcnt_dscnt 0x202
	v_add3_u32 v6, s14, v50, v6
	v_mov_b32_e32 v7, 1
	s_mov_b32 s15, exec_lo
	s_delay_alu instid0(VALU_DEP_2) | instskip(NEXT) | instid1(VALU_DEP_1)
	v_mul_lo_u32 v6, 0x1388, v6
	v_cmpx_ne_u32_e32 0, v6
	s_cbranch_execz .LBB27_62
; %bb.32:
	v_mov_b32_e32 v7, 0
	v_mov_b64_e32 v[10:11], 1
	s_mov_b64 s[10:11], 0xbc8f
	s_mov_b64 s[0:1], 0xfffffffd
	s_mov_b64 s[4:5], 0xffffffff
	v_mov_b64_e32 v[8:9], v[6:7]
	s_mov_b64 s[6:7], 0x80000001
	s_mov_b32 s9, 0
	s_mov_b32 s16, 0
	s_branch .LBB27_34
.LBB27_33:                              ;   in Loop: Header=BB27_34 Depth=1
	s_or_b32 exec_lo, exec_lo, s8
	s_mul_u64 s[10:11], s[10:11], s[10:11]
	s_mov_b32 s19, s9
	s_and_b64 s[20:21], s[10:11], s[0:1]
	s_mov_b32 s8, s11
	s_mul_u64 s[22:23], s[20:21], 3
	s_mul_u64 s[24:25], s[8:9], 3
	s_mov_b32 s18, s23
	s_mul_u64 s[20:21], s[20:21], s[6:7]
	s_add_nc_u64 s[18:19], s[24:25], s[18:19]
	v_lshrrev_b64 v[14:15], 1, v[8:9]
	s_and_b64 s[24:25], s[18:19], s[4:5]
	s_mov_b32 s23, s9
	s_add_nc_u64 s[20:21], s[20:21], s[24:25]
	s_mov_b32 s27, s9
	s_mov_b32 s22, s19
	;; [unrolled: 1-line block ×3, first 2 shown]
	s_mul_u64 s[20:21], s[8:9], s[6:7]
	s_add_nc_u64 s[18:19], s[22:23], s[26:27]
	v_cmp_gt_u64_e32 vcc_lo, 2, v[8:9]
	s_add_nc_u64 s[18:19], s[20:21], s[18:19]
	v_mov_b64_e32 v[8:9], v[14:15]
	s_lshr_b64 s[18:19], s[18:19], 30
	s_delay_alu instid0(SALU_CYCLE_1)
	s_mul_u64 s[18:19], s[18:19], 0x7fffffff
	s_or_b32 s16, vcc_lo, s16
	s_sub_nc_u64 s[10:11], s[10:11], s[18:19]
	s_and_not1_b32 exec_lo, exec_lo, s16
	s_cbranch_execz .LBB27_61
.LBB27_34:                              ; =>This Inner Loop Header: Depth=1
	s_delay_alu instid0(VALU_DEP_1) | instskip(SKIP_1) | instid1(VALU_DEP_1)
	v_and_b32_e32 v6, 1, v8
	s_mov_b32 s8, exec_lo
	v_cmpx_eq_u32_e32 1, v6
	s_cbranch_execz .LBB27_33
; %bb.35:                               ;   in Loop: Header=BB27_34 Depth=1
	v_mul_u64_e32 v[10:11], s[10:11], v[10:11]
	s_delay_alu instid0(VALU_DEP_1) | instskip(NEXT) | instid1(VALU_DEP_1)
	v_mov_b32_e32 v6, v10
	v_mul_u64_e32 v[14:15], 5, v[6:7]
	s_delay_alu instid0(VALU_DEP_1) | instskip(NEXT) | instid1(VALU_DEP_1)
	v_mov_b32_e32 v6, v15
	v_mad_nc_u64_u32 v[14:15], v11, 5, v[6:7]
	s_delay_alu instid0(VALU_DEP_1) | instskip(NEXT) | instid1(VALU_DEP_1)
	v_dual_mov_b32 v6, v15 :: v_dual_mov_b32 v15, v7
	v_mad_nc_u64_u32 v[14:15], v10, 2, v[14:15]
	s_delay_alu instid0(VALU_DEP_1) | instskip(NEXT) | instid1(VALU_DEP_1)
	v_dual_mov_b32 v14, v15 :: v_dual_mov_b32 v15, v7
	v_add_nc_u64_e32 v[14:15], v[6:7], v[14:15]
	s_delay_alu instid0(VALU_DEP_1) | instskip(NEXT) | instid1(VALU_DEP_1)
	v_mad_nc_u64_u32 v[14:15], v11, 2, v[14:15]
	v_sub_nc_u64_e32 v[16:17], v[10:11], v[14:15]
	s_delay_alu instid0(VALU_DEP_1) | instskip(NEXT) | instid1(VALU_DEP_1)
	v_lshrrev_b64 v[16:17], 1, v[16:17]
	v_add_nc_u64_e32 v[14:15], v[16:17], v[14:15]
	s_delay_alu instid0(VALU_DEP_1) | instskip(NEXT) | instid1(VALU_DEP_1)
	v_lshrrev_b64 v[14:15], 30, v[14:15]
	v_mul_u64_e32 v[14:15], 0x7fffffff, v[14:15]
	s_delay_alu instid0(VALU_DEP_1)
	v_sub_nc_u64_e32 v[10:11], v[10:11], v[14:15]
	s_branch .LBB27_33
.LBB27_36:
	v_dual_mov_b32 v7, 1 :: v_dual_add_nc_u32 v6, v12, v50
	s_mov_b32 s15, exec_lo
	s_delay_alu instid0(VALU_DEP_1) | instskip(NEXT) | instid1(VALU_DEP_1)
	v_mul_lo_u32 v6, 0x1388, v6
	v_cmpx_ne_u32_e32 0, v6
	s_cbranch_execz .LBB27_76
; %bb.37:
	v_mov_b32_e32 v9, 0
	v_mov_b64_e32 v[12:13], 1
	s_mov_b64 s[10:11], 0xbc8f
	s_mov_b64 s[0:1], 0xfffffffd
	;; [unrolled: 1-line block ×3, first 2 shown]
	v_mov_b32_e32 v7, v9
	s_mov_b64 s[6:7], 0x80000001
	s_mov_b32 s9, 0
	s_mov_b32 s16, 0
	s_delay_alu instid0(VALU_DEP_1)
	v_mov_b64_e32 v[10:11], v[6:7]
	s_branch .LBB27_39
.LBB27_38:                              ;   in Loop: Header=BB27_39 Depth=1
	s_or_b32 exec_lo, exec_lo, s8
	s_mul_u64 s[10:11], s[10:11], s[10:11]
	s_mov_b32 s19, s9
	s_and_b64 s[20:21], s[10:11], s[0:1]
	s_mov_b32 s8, s11
	s_mul_u64 s[22:23], s[20:21], 3
	s_mul_u64 s[24:25], s[8:9], 3
	s_mov_b32 s18, s23
	s_mul_u64 s[20:21], s[20:21], s[6:7]
	s_add_nc_u64 s[18:19], s[24:25], s[18:19]
	v_lshrrev_b64 v[16:17], 1, v[10:11]
	s_and_b64 s[24:25], s[18:19], s[2:3]
	s_mov_b32 s23, s9
	s_add_nc_u64 s[20:21], s[20:21], s[24:25]
	s_mov_b32 s27, s9
	s_mov_b32 s22, s19
	;; [unrolled: 1-line block ×3, first 2 shown]
	s_mul_u64 s[20:21], s[8:9], s[6:7]
	s_add_nc_u64 s[18:19], s[22:23], s[26:27]
	v_cmp_gt_u64_e32 vcc_lo, 2, v[10:11]
	s_add_nc_u64 s[18:19], s[20:21], s[18:19]
	v_mov_b64_e32 v[10:11], v[16:17]
	s_lshr_b64 s[18:19], s[18:19], 30
	s_delay_alu instid0(SALU_CYCLE_1)
	s_mul_u64 s[18:19], s[18:19], 0x7fffffff
	s_or_b32 s16, vcc_lo, s16
	s_sub_nc_u64 s[10:11], s[10:11], s[18:19]
	s_and_not1_b32 exec_lo, exec_lo, s16
	s_cbranch_execz .LBB27_75
.LBB27_39:                              ; =>This Inner Loop Header: Depth=1
	s_delay_alu instid0(VALU_DEP_1) | instskip(SKIP_1) | instid1(VALU_DEP_1)
	v_and_b32_e32 v7, 1, v10
	s_mov_b32 s8, exec_lo
	v_cmpx_eq_u32_e32 1, v7
	s_cbranch_execz .LBB27_38
; %bb.40:                               ;   in Loop: Header=BB27_39 Depth=1
	v_mul_u64_e32 v[12:13], s[10:11], v[12:13]
	s_delay_alu instid0(VALU_DEP_1) | instskip(NEXT) | instid1(VALU_DEP_1)
	v_mov_b32_e32 v8, v12
	v_mul_u64_e32 v[16:17], 5, v[8:9]
	s_delay_alu instid0(VALU_DEP_1) | instskip(NEXT) | instid1(VALU_DEP_1)
	v_mov_b32_e32 v8, v17
	v_mad_nc_u64_u32 v[16:17], v13, 5, v[8:9]
	s_delay_alu instid0(VALU_DEP_1) | instskip(NEXT) | instid1(VALU_DEP_1)
	v_dual_mov_b32 v8, v17 :: v_dual_mov_b32 v17, v9
	v_mad_nc_u64_u32 v[16:17], v12, 2, v[16:17]
	s_delay_alu instid0(VALU_DEP_1) | instskip(NEXT) | instid1(VALU_DEP_1)
	v_dual_mov_b32 v16, v17 :: v_dual_mov_b32 v17, v9
	v_add_nc_u64_e32 v[16:17], v[8:9], v[16:17]
	s_delay_alu instid0(VALU_DEP_1) | instskip(NEXT) | instid1(VALU_DEP_1)
	v_mad_nc_u64_u32 v[16:17], v13, 2, v[16:17]
	v_sub_nc_u64_e32 v[18:19], v[12:13], v[16:17]
	s_delay_alu instid0(VALU_DEP_1) | instskip(NEXT) | instid1(VALU_DEP_1)
	v_lshrrev_b64 v[18:19], 1, v[18:19]
	v_add_nc_u64_e32 v[16:17], v[18:19], v[16:17]
	s_delay_alu instid0(VALU_DEP_1) | instskip(NEXT) | instid1(VALU_DEP_1)
	v_lshrrev_b64 v[16:17], 30, v[16:17]
	v_mul_u64_e32 v[16:17], 0x7fffffff, v[16:17]
	s_delay_alu instid0(VALU_DEP_1)
	v_sub_nc_u64_e32 v[12:13], v[12:13], v[16:17]
	s_branch .LBB27_38
.LBB27_41:
	v_dual_mov_b32 v3, 1 :: v_dual_add_nc_u32 v2, v18, v50
	s_mov_b32 s14, exec_lo
	s_delay_alu instid0(VALU_DEP_1) | instskip(NEXT) | instid1(VALU_DEP_1)
	v_mul_lo_u32 v2, 0x1388, v2
	v_cmpx_ne_u32_e32 0, v2
	s_cbranch_execz .LBB27_84
; %bb.42:
	v_mov_b32_e32 v5, 0
	v_mov_b64_e32 v[12:13], 1
	s_mov_b64 s[10:11], 0xbc8f
	s_mov_b64 s[0:1], 0xfffffffd
	;; [unrolled: 1-line block ×3, first 2 shown]
	v_mov_b32_e32 v3, v5
	s_mov_b64 s[4:5], 0x80000001
	s_mov_b32 s9, 0
	s_mov_b32 s15, 0
	s_delay_alu instid0(VALU_DEP_1)
	v_mov_b64_e32 v[10:11], v[2:3]
	s_branch .LBB27_44
.LBB27_43:                              ;   in Loop: Header=BB27_44 Depth=1
	s_or_b32 exec_lo, exec_lo, s8
	s_mul_u64 s[10:11], s[10:11], s[10:11]
	s_mov_b32 s19, s9
	s_and_b64 s[20:21], s[10:11], s[0:1]
	s_mov_b32 s8, s11
	s_mul_u64 s[22:23], s[20:21], 3
	s_mul_u64 s[24:25], s[8:9], 3
	s_mov_b32 s18, s23
	s_mul_u64 s[20:21], s[20:21], s[4:5]
	s_add_nc_u64 s[18:19], s[24:25], s[18:19]
	v_lshrrev_b64 v[14:15], 1, v[10:11]
	s_and_b64 s[24:25], s[18:19], s[2:3]
	s_mov_b32 s23, s9
	s_add_nc_u64 s[20:21], s[20:21], s[24:25]
	s_mov_b32 s27, s9
	s_mov_b32 s22, s19
	;; [unrolled: 1-line block ×3, first 2 shown]
	s_mul_u64 s[20:21], s[8:9], s[4:5]
	s_add_nc_u64 s[18:19], s[22:23], s[26:27]
	v_cmp_gt_u64_e32 vcc_lo, 2, v[10:11]
	s_add_nc_u64 s[18:19], s[20:21], s[18:19]
	v_mov_b64_e32 v[10:11], v[14:15]
	s_lshr_b64 s[18:19], s[18:19], 30
	s_delay_alu instid0(SALU_CYCLE_1)
	s_mul_u64 s[18:19], s[18:19], 0x7fffffff
	s_or_b32 s15, vcc_lo, s15
	s_sub_nc_u64 s[10:11], s[10:11], s[18:19]
	s_and_not1_b32 exec_lo, exec_lo, s15
	s_cbranch_execz .LBB27_83
.LBB27_44:                              ; =>This Inner Loop Header: Depth=1
	s_delay_alu instid0(VALU_DEP_1) | instskip(SKIP_1) | instid1(VALU_DEP_1)
	v_and_b32_e32 v3, 1, v10
	s_mov_b32 s8, exec_lo
	v_cmpx_eq_u32_e32 1, v3
	s_cbranch_execz .LBB27_43
; %bb.45:                               ;   in Loop: Header=BB27_44 Depth=1
	v_mul_u64_e32 v[12:13], s[10:11], v[12:13]
	s_delay_alu instid0(VALU_DEP_1) | instskip(NEXT) | instid1(VALU_DEP_1)
	v_mov_b32_e32 v4, v12
	v_mul_u64_e32 v[14:15], 5, v[4:5]
	s_delay_alu instid0(VALU_DEP_1) | instskip(NEXT) | instid1(VALU_DEP_1)
	v_mov_b32_e32 v4, v15
	v_mad_nc_u64_u32 v[14:15], v13, 5, v[4:5]
	s_delay_alu instid0(VALU_DEP_1) | instskip(NEXT) | instid1(VALU_DEP_1)
	v_dual_mov_b32 v4, v15 :: v_dual_mov_b32 v15, v5
	v_mad_nc_u64_u32 v[14:15], v12, 2, v[14:15]
	s_delay_alu instid0(VALU_DEP_1) | instskip(NEXT) | instid1(VALU_DEP_1)
	v_dual_mov_b32 v14, v15 :: v_dual_mov_b32 v15, v5
	v_add_nc_u64_e32 v[14:15], v[4:5], v[14:15]
	s_delay_alu instid0(VALU_DEP_1) | instskip(NEXT) | instid1(VALU_DEP_1)
	v_mad_nc_u64_u32 v[14:15], v13, 2, v[14:15]
	v_sub_nc_u64_e32 v[18:19], v[12:13], v[14:15]
	s_delay_alu instid0(VALU_DEP_1) | instskip(NEXT) | instid1(VALU_DEP_1)
	v_lshrrev_b64 v[18:19], 1, v[18:19]
	v_add_nc_u64_e32 v[14:15], v[18:19], v[14:15]
	s_delay_alu instid0(VALU_DEP_1) | instskip(NEXT) | instid1(VALU_DEP_1)
	v_lshrrev_b64 v[14:15], 30, v[14:15]
	v_mul_u64_e32 v[14:15], 0x7fffffff, v[14:15]
	s_delay_alu instid0(VALU_DEP_1)
	v_sub_nc_u64_e32 v[12:13], v[12:13], v[14:15]
	s_branch .LBB27_43
.LBB27_46:
	v_dual_mov_b32 v3, 1 :: v_dual_add_nc_u32 v2, v22, v50
	s_mov_b32 s14, exec_lo
	s_delay_alu instid0(VALU_DEP_1) | instskip(NEXT) | instid1(VALU_DEP_1)
	v_mul_lo_u32 v2, 0x1388, v2
	v_cmpx_ne_u32_e32 0, v2
	s_cbranch_execz .LBB27_92
; %bb.47:
	v_mov_b32_e32 v5, 0
	v_mov_b64_e32 v[8:9], 1
	s_mov_b64 s[8:9], 0xbc8f
	s_mov_b64 s[0:1], 0xfffffffd
	;; [unrolled: 1-line block ×3, first 2 shown]
	v_mov_b32_e32 v3, v5
	s_mov_b64 s[4:5], 0x80000001
	s_mov_b32 s7, 0
	s_mov_b32 s15, 0
	s_delay_alu instid0(VALU_DEP_1)
	v_mov_b64_e32 v[6:7], v[2:3]
	s_branch .LBB27_49
.LBB27_48:                              ;   in Loop: Header=BB27_49 Depth=1
	s_or_b32 exec_lo, exec_lo, s6
	s_mul_u64 s[8:9], s[8:9], s[8:9]
	s_mov_b32 s17, s7
	s_and_b64 s[18:19], s[8:9], s[0:1]
	s_mov_b32 s6, s9
	s_mul_u64 s[22:23], s[18:19], 3
	s_mul_u64 s[24:25], s[6:7], 3
	s_mov_b32 s16, s23
	s_mul_u64 s[18:19], s[18:19], s[4:5]
	s_add_nc_u64 s[16:17], s[24:25], s[16:17]
	v_lshrrev_b64 v[14:15], 1, v[6:7]
	s_and_b64 s[24:25], s[16:17], s[2:3]
	s_mov_b32 s23, s7
	s_add_nc_u64 s[18:19], s[18:19], s[24:25]
	s_mov_b32 s27, s7
	s_mov_b32 s22, s17
	;; [unrolled: 1-line block ×3, first 2 shown]
	s_mul_u64 s[18:19], s[6:7], s[4:5]
	s_add_nc_u64 s[16:17], s[22:23], s[26:27]
	v_cmp_gt_u64_e32 vcc_lo, 2, v[6:7]
	s_add_nc_u64 s[16:17], s[18:19], s[16:17]
	v_mov_b64_e32 v[6:7], v[14:15]
	s_lshr_b64 s[16:17], s[16:17], 30
	s_delay_alu instid0(SALU_CYCLE_1)
	s_mul_u64 s[16:17], s[16:17], 0x7fffffff
	s_or_b32 s15, vcc_lo, s15
	s_sub_nc_u64 s[8:9], s[8:9], s[16:17]
	s_and_not1_b32 exec_lo, exec_lo, s15
	s_cbranch_execz .LBB27_91
.LBB27_49:                              ; =>This Inner Loop Header: Depth=1
	s_delay_alu instid0(VALU_DEP_1) | instskip(SKIP_1) | instid1(VALU_DEP_1)
	v_and_b32_e32 v3, 1, v6
	s_mov_b32 s6, exec_lo
	v_cmpx_eq_u32_e32 1, v3
	s_cbranch_execz .LBB27_48
; %bb.50:                               ;   in Loop: Header=BB27_49 Depth=1
	v_mul_u64_e32 v[8:9], s[8:9], v[8:9]
	s_delay_alu instid0(VALU_DEP_1) | instskip(NEXT) | instid1(VALU_DEP_1)
	v_mov_b32_e32 v4, v8
	v_mul_u64_e32 v[14:15], 5, v[4:5]
	s_delay_alu instid0(VALU_DEP_1) | instskip(NEXT) | instid1(VALU_DEP_1)
	v_mov_b32_e32 v4, v15
	v_mad_nc_u64_u32 v[14:15], v9, 5, v[4:5]
	s_delay_alu instid0(VALU_DEP_1) | instskip(NEXT) | instid1(VALU_DEP_1)
	v_dual_mov_b32 v4, v15 :: v_dual_mov_b32 v15, v5
	v_mad_nc_u64_u32 v[14:15], v8, 2, v[14:15]
	s_delay_alu instid0(VALU_DEP_1) | instskip(NEXT) | instid1(VALU_DEP_1)
	v_dual_mov_b32 v14, v15 :: v_dual_mov_b32 v15, v5
	v_add_nc_u64_e32 v[14:15], v[4:5], v[14:15]
	s_delay_alu instid0(VALU_DEP_1) | instskip(NEXT) | instid1(VALU_DEP_1)
	v_mad_nc_u64_u32 v[14:15], v9, 2, v[14:15]
	v_sub_nc_u64_e32 v[16:17], v[8:9], v[14:15]
	s_delay_alu instid0(VALU_DEP_1) | instskip(NEXT) | instid1(VALU_DEP_1)
	v_lshrrev_b64 v[16:17], 1, v[16:17]
	v_add_nc_u64_e32 v[14:15], v[16:17], v[14:15]
	s_delay_alu instid0(VALU_DEP_1) | instskip(NEXT) | instid1(VALU_DEP_1)
	v_lshrrev_b64 v[14:15], 30, v[14:15]
	v_mul_u64_e32 v[14:15], 0x7fffffff, v[14:15]
	s_delay_alu instid0(VALU_DEP_1)
	v_sub_nc_u64_e32 v[8:9], v[8:9], v[14:15]
	s_branch .LBB27_48
.LBB27_51:
	v_dual_mov_b32 v3, 1 :: v_dual_add_nc_u32 v2, v30, v50
	s_mov_b32 s12, exec_lo
	s_delay_alu instid0(VALU_DEP_1) | instskip(NEXT) | instid1(VALU_DEP_1)
	v_mul_lo_u32 v2, 0x1388, v2
	v_cmpx_ne_u32_e32 0, v2
	s_cbranch_execz .LBB27_100
; %bb.52:
	v_mov_b32_e32 v5, 0
	v_mov_b64_e32 v[8:9], 1
	s_mov_b64 s[8:9], 0xbc8f
	s_mov_b64 s[0:1], 0xfffffffd
	;; [unrolled: 1-line block ×3, first 2 shown]
	v_mov_b32_e32 v3, v5
	s_mov_b64 s[4:5], 0x80000001
	s_mov_b32 s7, 0
	s_mov_b32 s13, 0
	s_delay_alu instid0(VALU_DEP_1)
	v_mov_b64_e32 v[6:7], v[2:3]
	s_branch .LBB27_54
.LBB27_53:                              ;   in Loop: Header=BB27_54 Depth=1
	s_or_b32 exec_lo, exec_lo, s6
	s_mul_u64 s[8:9], s[8:9], s[8:9]
	s_mov_b32 s15, s7
	s_and_b64 s[16:17], s[8:9], s[0:1]
	s_mov_b32 s6, s9
	s_mul_u64 s[20:21], s[16:17], 3
	s_mul_u64 s[22:23], s[6:7], 3
	s_mov_b32 s14, s21
	s_mul_u64 s[16:17], s[16:17], s[4:5]
	s_add_nc_u64 s[14:15], s[22:23], s[14:15]
	v_lshrrev_b64 v[10:11], 1, v[6:7]
	s_and_b64 s[22:23], s[14:15], s[2:3]
	s_mov_b32 s21, s7
	s_add_nc_u64 s[16:17], s[16:17], s[22:23]
	s_mov_b32 s25, s7
	s_mov_b32 s20, s15
	;; [unrolled: 1-line block ×3, first 2 shown]
	s_mul_u64 s[16:17], s[6:7], s[4:5]
	s_add_nc_u64 s[14:15], s[20:21], s[24:25]
	v_cmp_gt_u64_e32 vcc_lo, 2, v[6:7]
	s_add_nc_u64 s[14:15], s[16:17], s[14:15]
	v_mov_b64_e32 v[6:7], v[10:11]
	s_lshr_b64 s[14:15], s[14:15], 30
	s_delay_alu instid0(SALU_CYCLE_1)
	s_mul_u64 s[14:15], s[14:15], 0x7fffffff
	s_or_b32 s13, vcc_lo, s13
	s_sub_nc_u64 s[8:9], s[8:9], s[14:15]
	s_and_not1_b32 exec_lo, exec_lo, s13
	s_cbranch_execz .LBB27_99
.LBB27_54:                              ; =>This Inner Loop Header: Depth=1
	s_delay_alu instid0(VALU_DEP_1) | instskip(SKIP_1) | instid1(VALU_DEP_1)
	v_and_b32_e32 v3, 1, v6
	s_mov_b32 s6, exec_lo
	v_cmpx_eq_u32_e32 1, v3
	s_cbranch_execz .LBB27_53
; %bb.55:                               ;   in Loop: Header=BB27_54 Depth=1
	v_mul_u64_e32 v[8:9], s[8:9], v[8:9]
	s_delay_alu instid0(VALU_DEP_1) | instskip(NEXT) | instid1(VALU_DEP_1)
	v_mov_b32_e32 v4, v8
	v_mul_u64_e32 v[10:11], 5, v[4:5]
	s_delay_alu instid0(VALU_DEP_1) | instskip(NEXT) | instid1(VALU_DEP_1)
	v_mov_b32_e32 v4, v11
	v_mad_nc_u64_u32 v[10:11], v9, 5, v[4:5]
	s_delay_alu instid0(VALU_DEP_1) | instskip(NEXT) | instid1(VALU_DEP_1)
	v_dual_mov_b32 v4, v11 :: v_dual_mov_b32 v11, v5
	v_mad_nc_u64_u32 v[10:11], v8, 2, v[10:11]
	s_delay_alu instid0(VALU_DEP_1) | instskip(NEXT) | instid1(VALU_DEP_1)
	v_dual_mov_b32 v10, v11 :: v_dual_mov_b32 v11, v5
	v_add_nc_u64_e32 v[10:11], v[4:5], v[10:11]
	s_delay_alu instid0(VALU_DEP_1) | instskip(NEXT) | instid1(VALU_DEP_1)
	v_mad_nc_u64_u32 v[10:11], v9, 2, v[10:11]
	v_sub_nc_u64_e32 v[12:13], v[8:9], v[10:11]
	s_delay_alu instid0(VALU_DEP_1) | instskip(NEXT) | instid1(VALU_DEP_1)
	v_lshrrev_b64 v[12:13], 1, v[12:13]
	v_add_nc_u64_e32 v[10:11], v[12:13], v[10:11]
	s_delay_alu instid0(VALU_DEP_1) | instskip(NEXT) | instid1(VALU_DEP_1)
	v_lshrrev_b64 v[10:11], 30, v[10:11]
	v_mul_u64_e32 v[10:11], 0x7fffffff, v[10:11]
	s_delay_alu instid0(VALU_DEP_1)
	v_sub_nc_u64_e32 v[8:9], v[8:9], v[10:11]
	s_branch .LBB27_53
.LBB27_56:
	v_dual_mov_b32 v1, 1 :: v_dual_add_nc_u32 v0, v53, v50
	s_mov_b32 s12, exec_lo
	s_delay_alu instid0(VALU_DEP_1) | instskip(NEXT) | instid1(VALU_DEP_1)
	v_mul_lo_u32 v0, 0x1388, v0
	v_cmpx_ne_u32_e32 0, v0
	s_cbranch_execz .LBB27_108
; %bb.57:
	v_mov_b32_e32 v3, 0
	v_mov_b64_e32 v[6:7], 1
	s_mov_b64 s[8:9], 0xbc8f
	s_mov_b64 s[0:1], 0xfffffffd
	;; [unrolled: 1-line block ×3, first 2 shown]
	v_mov_b32_e32 v1, v3
	s_mov_b64 s[4:5], 0x80000001
	s_mov_b32 s7, 0
	s_mov_b32 s13, 0
	s_delay_alu instid0(VALU_DEP_1)
	v_mov_b64_e32 v[4:5], v[0:1]
	s_branch .LBB27_59
.LBB27_58:                              ;   in Loop: Header=BB27_59 Depth=1
	s_or_b32 exec_lo, exec_lo, s6
	s_mul_u64 s[8:9], s[8:9], s[8:9]
	s_mov_b32 s15, s7
	s_and_b64 s[16:17], s[8:9], s[0:1]
	s_mov_b32 s6, s9
	s_mul_u64 s[18:19], s[16:17], 3
	s_mul_u64 s[20:21], s[6:7], 3
	s_mov_b32 s14, s19
	s_mul_u64 s[16:17], s[16:17], s[4:5]
	s_add_nc_u64 s[14:15], s[20:21], s[14:15]
	v_lshrrev_b64 v[8:9], 1, v[4:5]
	s_and_b64 s[20:21], s[14:15], s[2:3]
	s_mov_b32 s19, s7
	s_add_nc_u64 s[16:17], s[16:17], s[20:21]
	s_mov_b32 s23, s7
	s_mov_b32 s18, s15
	;; [unrolled: 1-line block ×3, first 2 shown]
	s_mul_u64 s[16:17], s[6:7], s[4:5]
	s_add_nc_u64 s[14:15], s[18:19], s[22:23]
	v_cmp_gt_u64_e32 vcc_lo, 2, v[4:5]
	s_add_nc_u64 s[14:15], s[16:17], s[14:15]
	v_mov_b64_e32 v[4:5], v[8:9]
	s_lshr_b64 s[14:15], s[14:15], 30
	s_delay_alu instid0(SALU_CYCLE_1)
	s_mul_u64 s[14:15], s[14:15], 0x7fffffff
	s_or_b32 s13, vcc_lo, s13
	s_sub_nc_u64 s[8:9], s[8:9], s[14:15]
	s_and_not1_b32 exec_lo, exec_lo, s13
	s_cbranch_execz .LBB27_107
.LBB27_59:                              ; =>This Inner Loop Header: Depth=1
	s_delay_alu instid0(VALU_DEP_1) | instskip(SKIP_1) | instid1(VALU_DEP_1)
	v_and_b32_e32 v1, 1, v4
	s_mov_b32 s6, exec_lo
	v_cmpx_eq_u32_e32 1, v1
	s_cbranch_execz .LBB27_58
; %bb.60:                               ;   in Loop: Header=BB27_59 Depth=1
	v_mul_u64_e32 v[6:7], s[8:9], v[6:7]
	s_delay_alu instid0(VALU_DEP_1) | instskip(NEXT) | instid1(VALU_DEP_1)
	v_mov_b32_e32 v2, v6
	v_mul_u64_e32 v[8:9], 5, v[2:3]
	s_delay_alu instid0(VALU_DEP_1) | instskip(NEXT) | instid1(VALU_DEP_1)
	v_mov_b32_e32 v2, v9
	v_mad_nc_u64_u32 v[8:9], v7, 5, v[2:3]
	s_delay_alu instid0(VALU_DEP_1) | instskip(NEXT) | instid1(VALU_DEP_1)
	v_dual_mov_b32 v2, v9 :: v_dual_mov_b32 v9, v3
	v_mad_nc_u64_u32 v[8:9], v6, 2, v[8:9]
	s_delay_alu instid0(VALU_DEP_1) | instskip(NEXT) | instid1(VALU_DEP_1)
	v_dual_mov_b32 v8, v9 :: v_dual_mov_b32 v9, v3
	v_add_nc_u64_e32 v[8:9], v[2:3], v[8:9]
	s_delay_alu instid0(VALU_DEP_1) | instskip(NEXT) | instid1(VALU_DEP_1)
	v_mad_nc_u64_u32 v[8:9], v7, 2, v[8:9]
	v_sub_nc_u64_e32 v[10:11], v[6:7], v[8:9]
	s_delay_alu instid0(VALU_DEP_1) | instskip(NEXT) | instid1(VALU_DEP_1)
	v_lshrrev_b64 v[10:11], 1, v[10:11]
	v_add_nc_u64_e32 v[8:9], v[10:11], v[8:9]
	s_delay_alu instid0(VALU_DEP_1) | instskip(NEXT) | instid1(VALU_DEP_1)
	v_lshrrev_b64 v[8:9], 30, v[8:9]
	v_mul_u64_e32 v[8:9], 0x7fffffff, v[8:9]
	s_delay_alu instid0(VALU_DEP_1)
	v_sub_nc_u64_e32 v[6:7], v[6:7], v[8:9]
	s_branch .LBB27_58
.LBB27_61:
	s_or_b32 exec_lo, exec_lo, s16
	v_add_min_u32_e64 v6, 0x80000001, v10, v10
	s_delay_alu instid0(VALU_DEP_1)
	v_add_min_u32_e64 v7, 0x80000001, v6, v6
.LBB27_62:
	s_or_b32 exec_lo, exec_lo, s15
	v_mov_b32_e32 v6, 0
	s_movk_i32 s5, 0x1388
	s_brev_b32 s4, 12
.LBB27_63:                              ; =>This Inner Loop Header: Depth=1
	v_mul_hi_u32 v8, 0xbc8f1391, v7
	s_delay_alu instid0(VALU_DEP_1) | instskip(NEXT) | instid1(VALU_DEP_1)
	v_lshrrev_b32_e32 v8, 15, v8
	v_mul_u32_u24_e32 v9, 0xadc8, v8
	s_delay_alu instid0(VALU_DEP_1) | instskip(SKIP_1) | instid1(VALU_DEP_2)
	v_sub_nc_u32_e32 v7, v7, v9
	v_mul_u32_u24_e32 v8, 0xd47, v8
	v_mul_lo_u32 v7, 0xbc8f, v7
	s_delay_alu instid0(VALU_DEP_2) | instskip(SKIP_1) | instid1(VALU_DEP_3)
	v_xor_b32_e32 v9, 0x7fffffff, v8
	v_sub_nc_u32_e32 v10, 0, v8
	v_cmp_lt_u32_e32 vcc_lo, v7, v8
	s_delay_alu instid0(VALU_DEP_2) | instskip(NEXT) | instid1(VALU_DEP_1)
	v_cndmask_b32_e32 v8, v10, v9, vcc_lo
	v_add_nc_u32_e32 v7, v8, v7
	s_delay_alu instid0(VALU_DEP_1) | instskip(NEXT) | instid1(VALU_DEP_1)
	v_mul_hi_u32 v8, 0xbc8f1391, v7
	v_lshrrev_b32_e32 v8, 15, v8
	s_delay_alu instid0(VALU_DEP_1) | instskip(SKIP_1) | instid1(VALU_DEP_2)
	v_mul_u32_u24_e32 v9, 0xadc8, v8
	v_mul_u32_u24_e32 v8, 0xd47, v8
	v_sub_nc_u32_e32 v9, v7, v9
	s_delay_alu instid0(VALU_DEP_2) | instskip(SKIP_1) | instid1(VALU_DEP_3)
	v_xor_b32_e32 v10, 0x7fffffff, v8
	v_add_nc_u32_e32 v7, -1, v7
	v_mul_lo_u32 v9, 0xbc8f, v9
	v_sub_nc_u32_e32 v11, 0, v8
	s_delay_alu instid0(VALU_DEP_2) | instskip(NEXT) | instid1(VALU_DEP_2)
	v_cmp_lt_u32_e32 vcc_lo, v9, v8
	v_cndmask_b32_e32 v8, v11, v10, vcc_lo
	s_delay_alu instid0(VALU_DEP_1) | instskip(NEXT) | instid1(VALU_DEP_1)
	v_add_nc_u32_e32 v9, v8, v9
	v_mul_hi_u32 v8, 0xbc8f1391, v9
	s_delay_alu instid0(VALU_DEP_1) | instskip(NEXT) | instid1(VALU_DEP_1)
	v_lshrrev_b32_e32 v8, 15, v8
	v_mul_u32_u24_e32 v10, 0xadc8, v8
	v_mul_u32_u24_e32 v8, 0xd47, v8
	s_delay_alu instid0(VALU_DEP_2) | instskip(NEXT) | instid1(VALU_DEP_2)
	v_sub_nc_u32_e32 v10, v9, v10
	v_xor_b32_e32 v11, 0x7fffffff, v8
	s_delay_alu instid0(VALU_DEP_2) | instskip(SKIP_1) | instid1(VALU_DEP_2)
	v_mul_lo_u32 v10, 0xbc8f, v10
	v_sub_nc_u32_e32 v13, 0, v8
	v_cmp_lt_u32_e32 vcc_lo, v10, v8
	s_delay_alu instid0(VALU_DEP_2) | instskip(NEXT) | instid1(VALU_DEP_1)
	v_dual_cndmask_b32 v8, v13, v11 :: v_dual_add_f32 v13, 1.0, v6
	v_add_nc_u32_e32 v10, v8, v10
	s_delay_alu instid0(VALU_DEP_1) | instskip(NEXT) | instid1(VALU_DEP_1)
	v_mul_hi_u32 v8, 0xbc8f1391, v10
	v_lshrrev_b32_e32 v8, 15, v8
	s_delay_alu instid0(VALU_DEP_1) | instskip(SKIP_2) | instid1(VALU_DEP_3)
	v_mul_u32_u24_e32 v11, 0xadc8, v8
	v_mul_u32_u24_e32 v14, 0xd47, v8
	v_cvt_f32_u32_e32 v8, v7
	v_sub_nc_u32_e32 v11, v10, v11
	s_delay_alu instid0(VALU_DEP_3) | instskip(SKIP_2) | instid1(VALU_DEP_4)
	v_xor_b32_e32 v7, 0x7fffffff, v14
	v_sub_nc_u32_e32 v15, 0, v14
	v_add_nc_u32_e32 v10, -1, v10
	v_mul_lo_u32 v11, 0xbc8f, v11
	s_delay_alu instid0(VALU_DEP_2) | instskip(NEXT) | instid1(VALU_DEP_2)
	v_cvt_f32_u32_e32 v10, v10
	v_cmp_lt_u32_e32 vcc_lo, v11, v14
	v_dual_add_nc_u32 v9, -1, v9 :: v_dual_cndmask_b32 v7, v15, v7, vcc_lo
	s_delay_alu instid0(VALU_DEP_1) | instskip(NEXT) | instid1(VALU_DEP_2)
	v_cvt_f32_u32_e32 v9, v9
	v_add_nc_u32_e32 v7, v7, v11
	s_delay_alu instid0(VALU_DEP_2) | instskip(NEXT) | instid1(VALU_DEP_1)
	v_pk_fma_f32 v[8:9], v[8:9], s[4:5], 0 op_sel_hi:[1,0,0]
	v_pk_mul_f32 v[8:9], v[8:9], v[8:9]
	s_delay_alu instid0(VALU_DEP_1) | instskip(NEXT) | instid1(VALU_DEP_1)
	v_dual_add_f32 v14, v8, v9 :: v_dual_add_nc_u32 v11, -1, v7
	v_cvt_f32_u32_e32 v11, v11
	s_delay_alu instid0(VALU_DEP_2) | instskip(NEXT) | instid1(VALU_DEP_2)
	v_cmp_gt_f32_e32 vcc_lo, 0xf800000, v14
	v_pk_fma_f32 v[8:9], v[10:11], s[4:5], 0 op_sel_hi:[1,0,0]
	s_add_co_i32 s5, s5, -2
	s_delay_alu instid0(SALU_CYCLE_1) | instskip(NEXT) | instid1(VALU_DEP_1)
	s_cmp_lg_u32 s5, 0
	v_pk_mul_f32 v[8:9], v[8:9], v[8:9]
	s_delay_alu instid0(VALU_DEP_1) | instskip(NEXT) | instid1(VALU_DEP_1)
	v_add_f32_e32 v8, v8, v9
	v_dual_mul_f32 v10, 0x4f800000, v14 :: v_dual_mul_f32 v11, 0x4f800000, v8
	s_delay_alu instid0(VALU_DEP_1) | instskip(SKIP_1) | instid1(VALU_DEP_2)
	v_cndmask_b32_e32 v10, v14, v10, vcc_lo
	v_cmp_gt_f32_e64 s0, 0xf800000, v8
	v_sqrt_f32_e32 v9, v10
	v_nop
	s_delay_alu instid0(TRANS32_DEP_1) | instskip(NEXT) | instid1(VALU_DEP_1)
	v_dual_add_nc_u32 v14, -1, v9 :: v_dual_cndmask_b32 v8, v8, v11, s0
	v_dual_add_nc_u32 v11, 1, v9 :: v_dual_fma_f32 v15, -v14, v9, v10
	s_delay_alu instid0(VALU_DEP_2) | instskip(NEXT) | instid1(VALU_DEP_1)
	v_sqrt_f32_e32 v16, v8
	v_cmp_ge_f32_e64 s1, 0, v15
	s_delay_alu instid0(VALU_DEP_1) | instskip(NEXT) | instid1(VALU_DEP_1)
	v_dual_fma_f32 v17, -v11, v9, v10 :: v_dual_cndmask_b32 v9, v9, v14, s1
	v_cmp_lt_f32_e64 s1, 0, v17
	s_delay_alu instid0(TRANS32_DEP_1) | instid1(VALU_DEP_1)
	v_dual_add_nc_u32 v14, -1, v16 :: v_dual_cndmask_b32 v9, v9, v11, s1
	s_delay_alu instid0(VALU_DEP_1) | instskip(NEXT) | instid1(VALU_DEP_1)
	v_dual_add_nc_u32 v11, 1, v16 :: v_dual_fma_f32 v15, -v14, v16, v8
	v_cmp_ge_f32_e64 s1, 0, v15
	s_delay_alu instid0(VALU_DEP_1) | instskip(NEXT) | instid1(VALU_DEP_1)
	v_dual_fma_f32 v18, -v11, v16, v8 :: v_dual_cndmask_b32 v14, v16, v14, s1
	v_cmp_lt_f32_e64 s1, 0, v18
	s_delay_alu instid0(VALU_DEP_1) | instskip(SKIP_1) | instid1(VALU_DEP_1)
	v_cndmask_b32_e64 v11, v14, v11, s1
	v_mul_f32_e32 v17, 0x37800000, v9
	v_cndmask_b32_e32 v9, v9, v17, vcc_lo
	v_cmp_class_f32_e64 vcc_lo, v10, 0x260
	s_delay_alu instid0(VALU_DEP_2) | instskip(NEXT) | instid1(VALU_DEP_1)
	v_dual_cndmask_b32 v9, v9, v10 :: v_dual_mul_f32 v10, 0x37800000, v11
	v_cmp_nge_f32_e32 vcc_lo, 1.0, v9
	s_delay_alu instid0(VALU_DEP_2) | instskip(SKIP_2) | instid1(VALU_DEP_1)
	v_cndmask_b32_e64 v9, v11, v10, s0
	v_cndmask_b32_e32 v6, v13, v6, vcc_lo
	v_cmp_class_f32_e64 vcc_lo, v8, 0x260
	v_dual_add_f32 v10, 1.0, v6 :: v_dual_cndmask_b32 v8, v9, v8, vcc_lo
	s_delay_alu instid0(VALU_DEP_1) | instskip(NEXT) | instid1(VALU_DEP_2)
	v_cmp_nge_f32_e32 vcc_lo, 1.0, v8
	v_cndmask_b32_e32 v6, v10, v6, vcc_lo
	s_cbranch_scc1 .LBB27_63
; %bb.64:
	s_delay_alu instid0(VALU_DEP_1) | instskip(SKIP_1) | instid1(VALU_DEP_1)
	v_mul_f32_e32 v6, 4.0, v6
	s_mov_b32 s0, exec_lo
	v_div_scale_f32 v7, null, 0x459c4000, 0x459c4000, v6
	s_delay_alu instid0(VALU_DEP_1) | instskip(SKIP_1) | instid1(TRANS32_DEP_1)
	v_rcp_f32_e32 v8, v7
	v_nop
	v_fma_f32 v9, -v7, v8, 1.0
	s_delay_alu instid0(VALU_DEP_1) | instskip(SKIP_1) | instid1(VALU_DEP_1)
	v_fmac_f32_e32 v8, v9, v8
	v_div_scale_f32 v10, vcc_lo, v6, 0x459c4000, v6
	v_mul_f32_e32 v9, v10, v8
	s_delay_alu instid0(VALU_DEP_1) | instskip(NEXT) | instid1(VALU_DEP_1)
	v_fma_f32 v11, -v7, v9, v10
	v_fmac_f32_e32 v9, v11, v8
	s_delay_alu instid0(VALU_DEP_1) | instskip(NEXT) | instid1(VALU_DEP_1)
	v_fma_f32 v7, -v7, v9, v10
	v_div_fmas_f32 v7, v7, v8, v9
	s_delay_alu instid0(VALU_DEP_1) | instskip(NEXT) | instid1(VALU_DEP_1)
	v_div_fixup_f32 v6, v7, 0x459c4000, v6
	v_mov_b32_dpp v7, v6 quad_perm:[1,0,3,2] row_mask:0xf bank_mask:0xf
	s_delay_alu instid0(VALU_DEP_1) | instskip(NEXT) | instid1(VALU_DEP_1)
	v_add_f32_e32 v6, v6, v7
	v_mov_b32_dpp v7, v6 quad_perm:[2,3,0,1] row_mask:0xf bank_mask:0xf
	s_delay_alu instid0(VALU_DEP_1) | instskip(NEXT) | instid1(VALU_DEP_1)
	v_add_f32_e32 v6, v6, v7
	v_mov_b32_dpp v7, v6 row_ror:4 row_mask:0xf bank_mask:0xf
	s_delay_alu instid0(VALU_DEP_1) | instskip(NEXT) | instid1(VALU_DEP_1)
	v_add_f32_e32 v6, v6, v7
	v_mov_b32_dpp v7, v6 row_ror:8 row_mask:0xf bank_mask:0xf
	s_delay_alu instid0(VALU_DEP_1)
	v_add_f32_e32 v6, v6, v7
	ds_swizzle_b32 v7, v6 offset:swizzle(BROADCAST,32,15)
	s_wait_dscnt 0x0
	v_dual_add_f32 v6, v6, v7 :: v_dual_mov_b32 v7, 0
	ds_bpermute_b32 v7, v7, v6 offset:124
	v_mbcnt_lo_u32_b32 v6, -1, 0
	s_delay_alu instid0(VALU_DEP_1)
	v_cmpx_eq_u32_e32 0, v6
	s_cbranch_execz .LBB27_66
; %bb.65:
	v_lshrrev_b32_e32 v8, 3, v50
	s_delay_alu instid0(VALU_DEP_1)
	v_and_b32_e32 v8, 0x7c, v8
	s_wait_dscnt 0x0
	ds_store_b32 v8, v7 offset:32
.LBB27_66:
	s_or_b32 exec_lo, exec_lo, s0
	s_delay_alu instid0(SALU_CYCLE_1)
	s_mov_b32 s0, exec_lo
	s_wait_storecnt 0x0
	s_wait_loadcnt_dscnt 0x0
	s_barrier_signal -1
	s_barrier_wait -1
	v_cmpx_gt_u32_e32 32, v50
	s_cbranch_execz .LBB27_68
; %bb.67:
	v_and_b32_e32 v7, 7, v6
	s_delay_alu instid0(VALU_DEP_1) | instskip(SKIP_1) | instid1(VALU_DEP_1)
	v_cmp_ne_u32_e32 vcc_lo, 7, v7
	v_add_co_ci_u32_e64 v9, null, 0, v6, vcc_lo
	v_lshlrev_b32_e32 v9, 2, v9
	v_cmp_gt_u32_e32 vcc_lo, 6, v7
	v_lshlrev_b32_e32 v8, 2, v7
	v_cndmask_b32_e64 v7, 0, 2, vcc_lo
	s_delay_alu instid0(VALU_DEP_1)
	v_add_lshl_u32 v7, v7, v6, 2
	v_lshlrev_b32_e32 v6, 2, v6
	ds_load_b32 v8, v8 offset:32
	v_or_b32_e32 v6, 16, v6
	s_wait_dscnt 0x0
	ds_bpermute_b32 v9, v9, v8
	s_wait_dscnt 0x0
	v_add_f32_e32 v8, v8, v9
	ds_bpermute_b32 v7, v7, v8
	s_wait_dscnt 0x0
	v_add_f32_e32 v7, v8, v7
	;; [unrolled: 3-line block ×3, first 2 shown]
.LBB27_68:
	s_or_b32 exec_lo, exec_lo, s0
                                        ; implicit-def: $vgpr6
	s_and_not1_saveexec_b32 s13, s13
	s_cbranch_execz .LBB27_3
.LBB27_69:
	v_subrev_nc_u32_e32 v13, s14, v2
	s_mov_b32 s15, exec_lo
                                        ; implicit-def: $vgpr7
	s_delay_alu instid0(VALU_DEP_1)
	v_cmpx_lt_u32_e64 v50, v13
	s_cbranch_execz .LBB27_605
; %bb.70:
	s_wait_loadcnt_dscnt 0x202
	v_add3_u32 v6, s14, v50, v6
	v_mov_b32_e32 v7, 1
	s_mov_b32 s1, 0
	s_mov_b32 s14, exec_lo
	s_delay_alu instid0(VALU_DEP_2) | instskip(NEXT) | instid1(VALU_DEP_1)
	v_mul_lo_u32 v6, 0x1388, v6
	v_cmpx_ne_u32_e32 0, v6
	s_cbranch_execz .LBB27_602
; %bb.71:
	v_mov_b32_e32 v7, 0
	v_mov_b64_e32 v[10:11], 1
	s_mov_b64 s[10:11], 0xbc8f
	s_mov_b64 s[4:5], 0xfffffffd
	;; [unrolled: 1-line block ×3, first 2 shown]
	v_mov_b64_e32 v[8:9], v[6:7]
	s_mov_b64 s[8:9], 0x80000001
	s_mov_b32 s16, 0
	s_branch .LBB27_73
.LBB27_72:                              ;   in Loop: Header=BB27_73 Depth=1
	s_or_b32 exec_lo, exec_lo, s0
	s_mul_u64 s[10:11], s[10:11], s[10:11]
	s_mov_b32 s19, s1
	s_and_b64 s[20:21], s[10:11], s[4:5]
	s_mov_b32 s0, s11
	s_mul_u64 s[22:23], s[20:21], 3
	s_mul_u64 s[24:25], s[0:1], 3
	s_mov_b32 s18, s23
	s_mul_u64 s[20:21], s[20:21], s[8:9]
	s_add_nc_u64 s[18:19], s[24:25], s[18:19]
	v_lshrrev_b64 v[14:15], 1, v[8:9]
	s_and_b64 s[24:25], s[18:19], s[6:7]
	s_mov_b32 s23, s1
	s_add_nc_u64 s[20:21], s[20:21], s[24:25]
	s_mov_b32 s27, s1
	s_mov_b32 s22, s19
	;; [unrolled: 1-line block ×3, first 2 shown]
	s_mul_u64 s[20:21], s[0:1], s[8:9]
	s_add_nc_u64 s[18:19], s[22:23], s[26:27]
	v_cmp_gt_u64_e32 vcc_lo, 2, v[8:9]
	s_add_nc_u64 s[18:19], s[20:21], s[18:19]
	v_mov_b64_e32 v[8:9], v[14:15]
	s_lshr_b64 s[18:19], s[18:19], 30
	s_delay_alu instid0(SALU_CYCLE_1)
	s_mul_u64 s[18:19], s[18:19], 0x7fffffff
	s_or_b32 s16, vcc_lo, s16
	s_sub_nc_u64 s[10:11], s[10:11], s[18:19]
	s_and_not1_b32 exec_lo, exec_lo, s16
	s_cbranch_execz .LBB27_601
.LBB27_73:                              ; =>This Inner Loop Header: Depth=1
	s_delay_alu instid0(VALU_DEP_1) | instskip(SKIP_1) | instid1(VALU_DEP_1)
	v_and_b32_e32 v6, 1, v8
	s_mov_b32 s0, exec_lo
	v_cmpx_eq_u32_e32 1, v6
	s_cbranch_execz .LBB27_72
; %bb.74:                               ;   in Loop: Header=BB27_73 Depth=1
	v_mul_u64_e32 v[10:11], s[10:11], v[10:11]
	s_delay_alu instid0(VALU_DEP_1) | instskip(NEXT) | instid1(VALU_DEP_1)
	v_mov_b32_e32 v6, v10
	v_mul_u64_e32 v[14:15], 5, v[6:7]
	s_delay_alu instid0(VALU_DEP_1) | instskip(NEXT) | instid1(VALU_DEP_1)
	v_mov_b32_e32 v6, v15
	v_mad_nc_u64_u32 v[14:15], v11, 5, v[6:7]
	s_delay_alu instid0(VALU_DEP_1) | instskip(NEXT) | instid1(VALU_DEP_1)
	v_dual_mov_b32 v6, v15 :: v_dual_mov_b32 v15, v7
	v_mad_nc_u64_u32 v[14:15], v10, 2, v[14:15]
	s_delay_alu instid0(VALU_DEP_1) | instskip(NEXT) | instid1(VALU_DEP_1)
	v_dual_mov_b32 v14, v15 :: v_dual_mov_b32 v15, v7
	v_add_nc_u64_e32 v[14:15], v[6:7], v[14:15]
	s_delay_alu instid0(VALU_DEP_1) | instskip(NEXT) | instid1(VALU_DEP_1)
	v_mad_nc_u64_u32 v[14:15], v11, 2, v[14:15]
	v_sub_nc_u64_e32 v[16:17], v[10:11], v[14:15]
	s_delay_alu instid0(VALU_DEP_1) | instskip(NEXT) | instid1(VALU_DEP_1)
	v_lshrrev_b64 v[16:17], 1, v[16:17]
	v_add_nc_u64_e32 v[14:15], v[16:17], v[14:15]
	s_delay_alu instid0(VALU_DEP_1) | instskip(NEXT) | instid1(VALU_DEP_1)
	v_lshrrev_b64 v[14:15], 30, v[14:15]
	v_mul_u64_e32 v[14:15], 0x7fffffff, v[14:15]
	s_delay_alu instid0(VALU_DEP_1)
	v_sub_nc_u64_e32 v[10:11], v[10:11], v[14:15]
	s_branch .LBB27_72
.LBB27_75:
	s_or_b32 exec_lo, exec_lo, s16
	v_add_min_u32_e64 v7, 0x80000001, v12, v12
	s_delay_alu instid0(VALU_DEP_1)
	v_add_min_u32_e64 v7, 0x80000001, v7, v7
.LBB27_76:
	s_or_b32 exec_lo, exec_lo, s15
	v_mov_b32_e32 v12, 0
	s_movk_i32 s3, 0x1388
	s_brev_b32 s2, 12
.LBB27_77:                              ; =>This Inner Loop Header: Depth=1
	v_mul_hi_u32 v8, 0xbc8f1391, v7
	s_delay_alu instid0(VALU_DEP_1) | instskip(NEXT) | instid1(VALU_DEP_1)
	v_lshrrev_b32_e32 v8, 15, v8
	v_mul_u32_u24_e32 v9, 0xadc8, v8
	s_delay_alu instid0(VALU_DEP_1) | instskip(SKIP_1) | instid1(VALU_DEP_2)
	v_sub_nc_u32_e32 v7, v7, v9
	v_mul_u32_u24_e32 v8, 0xd47, v8
	v_mul_lo_u32 v7, 0xbc8f, v7
	s_delay_alu instid0(VALU_DEP_2) | instskip(SKIP_1) | instid1(VALU_DEP_3)
	v_xor_b32_e32 v9, 0x7fffffff, v8
	v_sub_nc_u32_e32 v10, 0, v8
	v_cmp_lt_u32_e32 vcc_lo, v7, v8
	s_delay_alu instid0(VALU_DEP_2) | instskip(NEXT) | instid1(VALU_DEP_1)
	v_cndmask_b32_e32 v8, v10, v9, vcc_lo
	v_add_nc_u32_e32 v7, v8, v7
	s_delay_alu instid0(VALU_DEP_1) | instskip(NEXT) | instid1(VALU_DEP_1)
	v_mul_hi_u32 v8, 0xbc8f1391, v7
	v_lshrrev_b32_e32 v8, 15, v8
	s_delay_alu instid0(VALU_DEP_1) | instskip(SKIP_1) | instid1(VALU_DEP_2)
	v_mul_u32_u24_e32 v9, 0xadc8, v8
	v_mul_u32_u24_e32 v8, 0xd47, v8
	v_sub_nc_u32_e32 v9, v7, v9
	s_delay_alu instid0(VALU_DEP_2) | instskip(SKIP_1) | instid1(VALU_DEP_3)
	v_xor_b32_e32 v10, 0x7fffffff, v8
	v_add_nc_u32_e32 v7, -1, v7
	v_mul_lo_u32 v9, 0xbc8f, v9
	v_sub_nc_u32_e32 v11, 0, v8
	s_delay_alu instid0(VALU_DEP_2) | instskip(NEXT) | instid1(VALU_DEP_2)
	v_cmp_lt_u32_e32 vcc_lo, v9, v8
	v_cndmask_b32_e32 v8, v11, v10, vcc_lo
	s_delay_alu instid0(VALU_DEP_1) | instskip(NEXT) | instid1(VALU_DEP_1)
	v_add_nc_u32_e32 v9, v8, v9
	v_mul_hi_u32 v8, 0xbc8f1391, v9
	s_delay_alu instid0(VALU_DEP_1) | instskip(NEXT) | instid1(VALU_DEP_1)
	v_lshrrev_b32_e32 v8, 15, v8
	v_mul_u32_u24_e32 v10, 0xadc8, v8
	v_mul_u32_u24_e32 v8, 0xd47, v8
	s_delay_alu instid0(VALU_DEP_2) | instskip(NEXT) | instid1(VALU_DEP_2)
	v_sub_nc_u32_e32 v10, v9, v10
	v_xor_b32_e32 v11, 0x7fffffff, v8
	v_add_nc_u32_e32 v9, -1, v9
	s_delay_alu instid0(VALU_DEP_3) | instskip(SKIP_1) | instid1(VALU_DEP_3)
	v_mul_lo_u32 v10, 0xbc8f, v10
	v_sub_nc_u32_e32 v13, 0, v8
	v_cvt_f32_u32_e32 v9, v9
	s_delay_alu instid0(VALU_DEP_3) | instskip(NEXT) | instid1(VALU_DEP_3)
	v_cmp_lt_u32_e32 vcc_lo, v10, v8
	v_dual_cndmask_b32 v8, v13, v11 :: v_dual_add_f32 v13, 1.0, v12
	s_delay_alu instid0(VALU_DEP_1) | instskip(NEXT) | instid1(VALU_DEP_1)
	v_add_nc_u32_e32 v10, v8, v10
	v_mul_hi_u32 v8, 0xbc8f1391, v10
	s_delay_alu instid0(VALU_DEP_1) | instskip(NEXT) | instid1(VALU_DEP_1)
	v_lshrrev_b32_e32 v8, 15, v8
	v_mul_u32_u24_e32 v11, 0xadc8, v8
	v_mul_u32_u24_e32 v15, 0xd47, v8
	v_cvt_f32_u32_e32 v8, v7
	s_delay_alu instid0(VALU_DEP_3) | instskip(NEXT) | instid1(VALU_DEP_3)
	v_sub_nc_u32_e32 v11, v10, v11
	v_xor_b32_e32 v7, 0x7fffffff, v15
	s_delay_alu instid0(VALU_DEP_3) | instskip(SKIP_1) | instid1(VALU_DEP_4)
	v_pk_fma_f32 v[8:9], v[8:9], s[2:3], 0 op_sel_hi:[1,0,0]
	v_dual_sub_nc_u32 v16, 0, v15 :: v_dual_add_nc_u32 v10, -1, v10
	v_mul_lo_u32 v11, 0xbc8f, v11
	s_delay_alu instid0(VALU_DEP_3) | instskip(NEXT) | instid1(VALU_DEP_3)
	v_pk_mul_f32 v[8:9], v[8:9], v[8:9]
	v_cvt_f32_u32_e32 v10, v10
	s_delay_alu instid0(VALU_DEP_3) | instskip(NEXT) | instid1(VALU_DEP_3)
	v_cmp_lt_u32_e32 vcc_lo, v11, v15
	v_add_f32_e32 v15, v8, v9
	v_cndmask_b32_e32 v7, v16, v7, vcc_lo
	s_delay_alu instid0(VALU_DEP_1) | instskip(NEXT) | instid1(VALU_DEP_1)
	v_add_nc_u32_e32 v7, v7, v11
	v_add_nc_u32_e32 v11, -1, v7
	s_delay_alu instid0(VALU_DEP_1) | instskip(NEXT) | instid1(VALU_DEP_1)
	v_cvt_f32_u32_e32 v11, v11
	v_pk_fma_f32 v[8:9], v[10:11], s[2:3], 0 op_sel_hi:[1,0,0]
	s_add_co_i32 s3, s3, -2
	s_delay_alu instid0(SALU_CYCLE_1) | instskip(NEXT) | instid1(VALU_DEP_1)
	s_cmp_lg_u32 s3, 0
	v_pk_mul_f32 v[8:9], v[8:9], v[8:9]
	s_delay_alu instid0(VALU_DEP_1) | instskip(NEXT) | instid1(VALU_DEP_1)
	v_add_f32_e32 v8, v8, v9
	v_mul_f32_e32 v11, 0x4f800000, v8
	v_cmp_gt_f32_e64 s0, 0xf800000, v8
	s_delay_alu instid0(VALU_DEP_1) | instskip(SKIP_2) | instid1(VALU_DEP_3)
	v_cndmask_b32_e64 v8, v8, v11, s0
	v_mul_f32_e32 v10, 0x4f800000, v15
	v_cmp_gt_f32_e32 vcc_lo, 0xf800000, v15
	v_sqrt_f32_e32 v17, v8
	s_delay_alu instid0(VALU_DEP_2) | instskip(NEXT) | instid1(VALU_DEP_1)
	v_cndmask_b32_e32 v10, v15, v10, vcc_lo
	v_sqrt_f32_e32 v9, v10
	v_nop
	s_delay_alu instid0(TRANS32_DEP_1) | instskip(NEXT) | instid1(VALU_DEP_1)
	v_dual_add_nc_u32 v15, -1, v9 :: v_dual_add_nc_u32 v11, 1, v9
	v_fma_f32 v16, -v15, v9, v10
	s_delay_alu instid0(VALU_DEP_2) | instskip(NEXT) | instid1(VALU_DEP_2)
	v_fma_f32 v18, -v11, v9, v10
	v_cmp_ge_f32_e64 s1, 0, v16
	s_delay_alu instid0(VALU_DEP_1) | instskip(NEXT) | instid1(VALU_DEP_3)
	v_cndmask_b32_e64 v9, v9, v15, s1
	v_cmp_lt_f32_e64 s1, 0, v18
	s_delay_alu instid0(VALU_DEP_1) | instskip(NEXT) | instid1(VALU_DEP_1)
	v_dual_add_nc_u32 v15, -1, v17 :: v_dual_cndmask_b32 v9, v9, v11, s1
	v_dual_add_nc_u32 v11, 1, v17 :: v_dual_fma_f32 v16, -v15, v17, v8
	s_delay_alu instid0(VALU_DEP_2) | instskip(NEXT) | instid1(VALU_DEP_2)
	v_mul_f32_e32 v18, 0x37800000, v9
	v_fma_f32 v19, -v11, v17, v8
	s_delay_alu instid0(VALU_DEP_3) | instskip(NEXT) | instid1(VALU_DEP_3)
	v_cmp_ge_f32_e64 s1, 0, v16
	v_cndmask_b32_e32 v9, v9, v18, vcc_lo
	v_cmp_class_f32_e64 vcc_lo, v10, 0x260
	s_delay_alu instid0(VALU_DEP_3) | instskip(SKIP_1) | instid1(VALU_DEP_4)
	v_cndmask_b32_e64 v15, v17, v15, s1
	v_cmp_lt_f32_e64 s1, 0, v19
	v_cndmask_b32_e32 v9, v9, v10, vcc_lo
	s_delay_alu instid0(VALU_DEP_1) | instskip(NEXT) | instid1(VALU_DEP_3)
	v_cmp_nge_f32_e32 vcc_lo, 1.0, v9
	v_dual_cndmask_b32 v11, v15, v11, s1 :: v_dual_cndmask_b32 v9, v13, v12, vcc_lo
	s_delay_alu instid0(VALU_DEP_1) | instskip(SKIP_1) | instid1(VALU_DEP_2)
	v_mul_f32_e32 v10, 0x37800000, v11
	v_cmp_class_f32_e64 vcc_lo, v8, 0x260
	v_dual_cndmask_b32 v10, v11, v10, s0 :: v_dual_add_f32 v11, 1.0, v9
	s_delay_alu instid0(VALU_DEP_1) | instskip(NEXT) | instid1(VALU_DEP_1)
	v_cndmask_b32_e32 v8, v10, v8, vcc_lo
	v_cmp_nge_f32_e32 vcc_lo, 1.0, v8
	s_delay_alu instid0(VALU_DEP_3)
	v_cndmask_b32_e32 v12, v11, v9, vcc_lo
	s_cbranch_scc1 .LBB27_77
; %bb.78:
	v_dual_mov_b32 v7, 1 :: v_dual_add_nc_u32 v6, 0x138800, v6
	s_mov_b32 s1, 0
	s_mov_b32 s15, exec_lo
	s_delay_alu instid0(VALU_DEP_1)
	v_cmpx_ne_u32_e32 0, v6
	s_cbranch_execz .LBB27_116
; %bb.79:
	v_mov_b32_e32 v7, 0
	v_mov_b64_e32 v[10:11], 1
	s_mov_b64 s[10:11], 0xbc8f
	s_mov_b64 s[2:3], 0xfffffffd
	s_mov_b64 s[6:7], 0xffffffff
	v_mov_b64_e32 v[8:9], v[6:7]
	s_mov_b64 s[8:9], 0x80000001
	s_mov_b32 s16, 0
	s_branch .LBB27_81
.LBB27_80:                              ;   in Loop: Header=BB27_81 Depth=1
	s_or_b32 exec_lo, exec_lo, s0
	s_mul_u64 s[10:11], s[10:11], s[10:11]
	s_mov_b32 s19, s1
	s_and_b64 s[20:21], s[10:11], s[2:3]
	s_mov_b32 s0, s11
	s_mul_u64 s[22:23], s[20:21], 3
	s_mul_u64 s[24:25], s[0:1], 3
	s_mov_b32 s18, s23
	s_mul_u64 s[20:21], s[20:21], s[8:9]
	s_add_nc_u64 s[18:19], s[24:25], s[18:19]
	v_lshrrev_b64 v[16:17], 1, v[8:9]
	s_and_b64 s[24:25], s[18:19], s[6:7]
	s_mov_b32 s23, s1
	s_add_nc_u64 s[20:21], s[20:21], s[24:25]
	s_mov_b32 s27, s1
	s_mov_b32 s22, s19
	;; [unrolled: 1-line block ×3, first 2 shown]
	s_mul_u64 s[20:21], s[0:1], s[8:9]
	s_add_nc_u64 s[18:19], s[22:23], s[26:27]
	v_cmp_gt_u64_e32 vcc_lo, 2, v[8:9]
	s_add_nc_u64 s[18:19], s[20:21], s[18:19]
	v_mov_b64_e32 v[8:9], v[16:17]
	s_lshr_b64 s[18:19], s[18:19], 30
	s_delay_alu instid0(SALU_CYCLE_1)
	s_mul_u64 s[18:19], s[18:19], 0x7fffffff
	s_or_b32 s16, vcc_lo, s16
	s_sub_nc_u64 s[10:11], s[10:11], s[18:19]
	s_and_not1_b32 exec_lo, exec_lo, s16
	s_cbranch_execz .LBB27_115
.LBB27_81:                              ; =>This Inner Loop Header: Depth=1
	s_delay_alu instid0(VALU_DEP_1) | instskip(SKIP_1) | instid1(VALU_DEP_1)
	v_and_b32_e32 v6, 1, v8
	s_mov_b32 s0, exec_lo
	v_cmpx_eq_u32_e32 1, v6
	s_cbranch_execz .LBB27_80
; %bb.82:                               ;   in Loop: Header=BB27_81 Depth=1
	v_mul_u64_e32 v[10:11], s[10:11], v[10:11]
	s_delay_alu instid0(VALU_DEP_1) | instskip(NEXT) | instid1(VALU_DEP_1)
	v_mov_b32_e32 v6, v10
	v_mul_u64_e32 v[16:17], 5, v[6:7]
	s_delay_alu instid0(VALU_DEP_1) | instskip(NEXT) | instid1(VALU_DEP_1)
	v_mov_b32_e32 v6, v17
	v_mad_nc_u64_u32 v[16:17], v11, 5, v[6:7]
	s_delay_alu instid0(VALU_DEP_1) | instskip(NEXT) | instid1(VALU_DEP_1)
	v_dual_mov_b32 v6, v17 :: v_dual_mov_b32 v17, v7
	v_mad_nc_u64_u32 v[16:17], v10, 2, v[16:17]
	s_delay_alu instid0(VALU_DEP_1) | instskip(NEXT) | instid1(VALU_DEP_1)
	v_dual_mov_b32 v16, v17 :: v_dual_mov_b32 v17, v7
	v_add_nc_u64_e32 v[16:17], v[6:7], v[16:17]
	s_delay_alu instid0(VALU_DEP_1) | instskip(NEXT) | instid1(VALU_DEP_1)
	v_mad_nc_u64_u32 v[16:17], v11, 2, v[16:17]
	v_sub_nc_u64_e32 v[18:19], v[10:11], v[16:17]
	s_delay_alu instid0(VALU_DEP_1) | instskip(NEXT) | instid1(VALU_DEP_1)
	v_lshrrev_b64 v[18:19], 1, v[18:19]
	v_add_nc_u64_e32 v[16:17], v[18:19], v[16:17]
	s_delay_alu instid0(VALU_DEP_1) | instskip(NEXT) | instid1(VALU_DEP_1)
	v_lshrrev_b64 v[16:17], 30, v[16:17]
	v_mul_u64_e32 v[16:17], 0x7fffffff, v[16:17]
	s_delay_alu instid0(VALU_DEP_1)
	v_sub_nc_u64_e32 v[10:11], v[10:11], v[16:17]
	s_branch .LBB27_80
.LBB27_83:
	s_or_b32 exec_lo, exec_lo, s15
	v_add_min_u32_e64 v3, 0x80000001, v12, v12
	s_delay_alu instid0(VALU_DEP_1)
	v_add_min_u32_e64 v3, 0x80000001, v3, v3
.LBB27_84:
	s_or_b32 exec_lo, exec_lo, s14
	v_mov_b32_e32 v14, 0
	s_movk_i32 s3, 0x1388
	s_brev_b32 s2, 12
.LBB27_85:                              ; =>This Inner Loop Header: Depth=1
	v_mul_hi_u32 v4, 0xbc8f1391, v3
	s_delay_alu instid0(VALU_DEP_1) | instskip(NEXT) | instid1(VALU_DEP_1)
	v_lshrrev_b32_e32 v4, 15, v4
	v_mul_u32_u24_e32 v5, 0xadc8, v4
	s_delay_alu instid0(VALU_DEP_1) | instskip(SKIP_1) | instid1(VALU_DEP_2)
	v_sub_nc_u32_e32 v3, v3, v5
	v_mul_u32_u24_e32 v4, 0xd47, v4
	v_mul_lo_u32 v3, 0xbc8f, v3
	s_delay_alu instid0(VALU_DEP_2) | instskip(SKIP_1) | instid1(VALU_DEP_3)
	v_xor_b32_e32 v5, 0x7fffffff, v4
	v_sub_nc_u32_e32 v10, 0, v4
	v_cmp_lt_u32_e32 vcc_lo, v3, v4
	s_delay_alu instid0(VALU_DEP_2) | instskip(NEXT) | instid1(VALU_DEP_1)
	v_cndmask_b32_e32 v4, v10, v5, vcc_lo
	v_add_nc_u32_e32 v3, v4, v3
	s_delay_alu instid0(VALU_DEP_1) | instskip(NEXT) | instid1(VALU_DEP_1)
	v_mul_hi_u32 v4, 0xbc8f1391, v3
	v_lshrrev_b32_e32 v4, 15, v4
	s_delay_alu instid0(VALU_DEP_1) | instskip(SKIP_1) | instid1(VALU_DEP_2)
	v_mul_u32_u24_e32 v5, 0xadc8, v4
	v_mul_u32_u24_e32 v4, 0xd47, v4
	v_sub_nc_u32_e32 v5, v3, v5
	s_delay_alu instid0(VALU_DEP_2) | instskip(SKIP_1) | instid1(VALU_DEP_3)
	v_xor_b32_e32 v10, 0x7fffffff, v4
	v_add_nc_u32_e32 v3, -1, v3
	v_mul_lo_u32 v5, 0xbc8f, v5
	v_sub_nc_u32_e32 v11, 0, v4
	s_delay_alu instid0(VALU_DEP_2) | instskip(NEXT) | instid1(VALU_DEP_2)
	v_cmp_lt_u32_e32 vcc_lo, v5, v4
	v_cndmask_b32_e32 v4, v11, v10, vcc_lo
	s_delay_alu instid0(VALU_DEP_1) | instskip(NEXT) | instid1(VALU_DEP_1)
	v_add_nc_u32_e32 v5, v4, v5
	v_mul_hi_u32 v4, 0xbc8f1391, v5
	s_delay_alu instid0(VALU_DEP_1) | instskip(NEXT) | instid1(VALU_DEP_1)
	v_lshrrev_b32_e32 v4, 15, v4
	v_mul_u32_u24_e32 v10, 0xadc8, v4
	v_mul_u32_u24_e32 v4, 0xd47, v4
	s_delay_alu instid0(VALU_DEP_2) | instskip(NEXT) | instid1(VALU_DEP_2)
	v_sub_nc_u32_e32 v10, v5, v10
	v_xor_b32_e32 v11, 0x7fffffff, v4
	s_delay_alu instid0(VALU_DEP_2) | instskip(SKIP_1) | instid1(VALU_DEP_2)
	v_mul_lo_u32 v10, 0xbc8f, v10
	v_sub_nc_u32_e32 v12, 0, v4
	v_cmp_lt_u32_e32 vcc_lo, v10, v4
	s_delay_alu instid0(VALU_DEP_2) | instskip(NEXT) | instid1(VALU_DEP_1)
	v_dual_cndmask_b32 v4, v12, v11, vcc_lo :: v_dual_add_f32 v12, 1.0, v14
	v_add_nc_u32_e32 v10, v4, v10
	s_delay_alu instid0(VALU_DEP_1) | instskip(NEXT) | instid1(VALU_DEP_1)
	v_mul_hi_u32 v4, 0xbc8f1391, v10
	v_lshrrev_b32_e32 v4, 15, v4
	s_delay_alu instid0(VALU_DEP_1) | instskip(SKIP_2) | instid1(VALU_DEP_3)
	v_mul_u32_u24_e32 v11, 0xadc8, v4
	v_mul_u32_u24_e32 v13, 0xd47, v4
	v_cvt_f32_u32_e32 v4, v3
	v_sub_nc_u32_e32 v11, v10, v11
	s_delay_alu instid0(VALU_DEP_3) | instskip(SKIP_1) | instid1(VALU_DEP_3)
	v_xor_b32_e32 v3, 0x7fffffff, v13
	v_dual_sub_nc_u32 v15, 0, v13 :: v_dual_add_nc_u32 v10, -1, v10
	v_mul_lo_u32 v11, 0xbc8f, v11
	s_delay_alu instid0(VALU_DEP_2) | instskip(NEXT) | instid1(VALU_DEP_2)
	v_cvt_f32_u32_e32 v10, v10
	v_cmp_lt_u32_e32 vcc_lo, v11, v13
	s_delay_alu instid0(VALU_DEP_4) | instskip(NEXT) | instid1(VALU_DEP_1)
	v_dual_add_nc_u32 v5, -1, v5 :: v_dual_cndmask_b32 v3, v15, v3, vcc_lo
	v_cvt_f32_u32_e32 v5, v5
	s_delay_alu instid0(VALU_DEP_2) | instskip(NEXT) | instid1(VALU_DEP_2)
	v_add_nc_u32_e32 v3, v3, v11
	v_pk_fma_f32 v[4:5], v[4:5], s[2:3], 0 op_sel_hi:[1,0,0]
	s_delay_alu instid0(VALU_DEP_1) | instskip(NEXT) | instid1(VALU_DEP_1)
	v_pk_mul_f32 v[4:5], v[4:5], v[4:5]
	v_dual_add_nc_u32 v11, -1, v3 :: v_dual_add_f32 v13, v4, v5
	s_delay_alu instid0(VALU_DEP_1) | instskip(NEXT) | instid1(VALU_DEP_2)
	v_cvt_f32_u32_e32 v11, v11
	v_cmp_gt_f32_e32 vcc_lo, 0xf800000, v13
	s_delay_alu instid0(VALU_DEP_2) | instskip(SKIP_1) | instid1(SALU_CYCLE_1)
	v_pk_fma_f32 v[4:5], v[10:11], s[2:3], 0 op_sel_hi:[1,0,0]
	s_add_co_i32 s3, s3, -2
	s_cmp_lg_u32 s3, 0
	s_delay_alu instid0(VALU_DEP_1) | instskip(NEXT) | instid1(VALU_DEP_1)
	v_pk_mul_f32 v[4:5], v[4:5], v[4:5]
	v_add_f32_e32 v4, v4, v5
	s_delay_alu instid0(VALU_DEP_1) | instskip(NEXT) | instid1(VALU_DEP_1)
	v_dual_mul_f32 v10, 0x4f800000, v13 :: v_dual_mul_f32 v11, 0x4f800000, v4
	v_cndmask_b32_e32 v10, v13, v10, vcc_lo
	v_cmp_gt_f32_e64 s0, 0xf800000, v4
	s_delay_alu instid0(VALU_DEP_2) | instskip(SKIP_1) | instid1(TRANS32_DEP_1)
	v_sqrt_f32_e32 v5, v10
	v_nop
	v_dual_add_nc_u32 v13, -1, v5 :: v_dual_cndmask_b32 v4, v4, v11, s0
	s_delay_alu instid0(VALU_DEP_1) | instskip(NEXT) | instid1(VALU_DEP_2)
	v_dual_add_nc_u32 v11, 1, v5 :: v_dual_fma_f32 v15, -v13, v5, v10
	v_sqrt_f32_e32 v17, v4
	s_delay_alu instid0(VALU_DEP_1) | instskip(NEXT) | instid1(VALU_DEP_2)
	v_fma_f32 v18, -v11, v5, v10
	v_cmp_ge_f32_e64 s1, 0, v15
	s_delay_alu instid0(VALU_DEP_1) | instskip(NEXT) | instid1(VALU_DEP_3)
	v_cndmask_b32_e64 v5, v5, v13, s1
	v_cmp_lt_f32_e64 s1, 0, v18
	s_delay_alu instid0(TRANS32_DEP_1) | instid1(VALU_DEP_1)
	v_dual_add_nc_u32 v13, -1, v17 :: v_dual_cndmask_b32 v5, v5, v11, s1
	s_delay_alu instid0(VALU_DEP_1) | instskip(NEXT) | instid1(VALU_DEP_2)
	v_dual_add_nc_u32 v11, 1, v17 :: v_dual_fma_f32 v15, -v13, v17, v4
	v_mul_f32_e32 v18, 0x37800000, v5
	s_delay_alu instid0(VALU_DEP_2) | instskip(NEXT) | instid1(VALU_DEP_3)
	v_fma_f32 v19, -v11, v17, v4
	v_cmp_ge_f32_e64 s1, 0, v15
	s_delay_alu instid0(VALU_DEP_3) | instskip(SKIP_1) | instid1(VALU_DEP_2)
	v_cndmask_b32_e32 v5, v5, v18, vcc_lo
	v_cmp_class_f32_e64 vcc_lo, v10, 0x260
	v_cndmask_b32_e32 v5, v5, v10, vcc_lo
	s_delay_alu instid0(VALU_DEP_1) | instskip(SKIP_4) | instid1(VALU_DEP_3)
	v_cmp_nge_f32_e32 vcc_lo, 1.0, v5
	v_cndmask_b32_e64 v13, v17, v13, s1
	v_cmp_lt_f32_e64 s1, 0, v19
	v_cndmask_b32_e32 v5, v12, v14, vcc_lo
	v_cmp_class_f32_e64 vcc_lo, v4, 0x260
	v_cndmask_b32_e64 v11, v13, v11, s1
	s_delay_alu instid0(VALU_DEP_1) | instskip(NEXT) | instid1(VALU_DEP_1)
	v_mul_f32_e32 v10, 0x37800000, v11
	v_dual_cndmask_b32 v10, v11, v10, s0 :: v_dual_add_f32 v11, 1.0, v5
	s_delay_alu instid0(VALU_DEP_1) | instskip(NEXT) | instid1(VALU_DEP_1)
	v_cndmask_b32_e32 v4, v10, v4, vcc_lo
	v_cmp_nge_f32_e32 vcc_lo, 1.0, v4
	s_delay_alu instid0(VALU_DEP_3)
	v_cndmask_b32_e32 v14, v11, v5, vcc_lo
	s_cbranch_scc1 .LBB27_85
; %bb.86:
	v_dual_mov_b32 v3, 1 :: v_dual_add_nc_u32 v4, 0x138800, v2
	s_mov_b32 s1, 0
	s_mov_b32 s14, exec_lo
	s_delay_alu instid0(VALU_DEP_1)
	v_cmpx_ne_u32_e32 0, v4
	s_cbranch_execz .LBB27_130
; %bb.87:
	v_mov_b32_e32 v5, 0
	v_mov_b64_e32 v[12:13], 1
	s_mov_b64 s[10:11], 0xbc8f
	s_mov_b64 s[2:3], 0xfffffffd
	s_mov_b64 s[4:5], 0xffffffff
	v_mov_b64_e32 v[10:11], v[4:5]
	s_mov_b64 s[8:9], 0x80000001
	s_mov_b32 s15, 0
	s_branch .LBB27_89
.LBB27_88:                              ;   in Loop: Header=BB27_89 Depth=1
	s_or_b32 exec_lo, exec_lo, s0
	s_mul_u64 s[10:11], s[10:11], s[10:11]
	s_mov_b32 s19, s1
	s_and_b64 s[20:21], s[10:11], s[2:3]
	s_mov_b32 s0, s11
	s_mul_u64 s[22:23], s[20:21], 3
	s_mul_u64 s[24:25], s[0:1], 3
	s_mov_b32 s18, s23
	s_mul_u64 s[20:21], s[20:21], s[8:9]
	s_add_nc_u64 s[18:19], s[24:25], s[18:19]
	v_lshrrev_b64 v[18:19], 1, v[10:11]
	s_and_b64 s[24:25], s[18:19], s[4:5]
	s_mov_b32 s23, s1
	s_add_nc_u64 s[20:21], s[20:21], s[24:25]
	s_mov_b32 s27, s1
	s_mov_b32 s22, s19
	;; [unrolled: 1-line block ×3, first 2 shown]
	s_mul_u64 s[20:21], s[0:1], s[8:9]
	s_add_nc_u64 s[18:19], s[22:23], s[26:27]
	v_cmp_gt_u64_e32 vcc_lo, 2, v[10:11]
	s_add_nc_u64 s[18:19], s[20:21], s[18:19]
	v_mov_b64_e32 v[10:11], v[18:19]
	s_lshr_b64 s[18:19], s[18:19], 30
	s_delay_alu instid0(SALU_CYCLE_1)
	s_mul_u64 s[18:19], s[18:19], 0x7fffffff
	s_or_b32 s15, vcc_lo, s15
	s_sub_nc_u64 s[10:11], s[10:11], s[18:19]
	s_and_not1_b32 exec_lo, exec_lo, s15
	s_cbranch_execz .LBB27_129
.LBB27_89:                              ; =>This Inner Loop Header: Depth=1
	s_delay_alu instid0(VALU_DEP_1) | instskip(SKIP_1) | instid1(VALU_DEP_1)
	v_and_b32_e32 v3, 1, v10
	s_mov_b32 s0, exec_lo
	v_cmpx_eq_u32_e32 1, v3
	s_cbranch_execz .LBB27_88
; %bb.90:                               ;   in Loop: Header=BB27_89 Depth=1
	v_mul_u64_e32 v[12:13], s[10:11], v[12:13]
	s_delay_alu instid0(VALU_DEP_1) | instskip(NEXT) | instid1(VALU_DEP_1)
	v_mov_b32_e32 v4, v12
	v_mul_u64_e32 v[18:19], 5, v[4:5]
	s_delay_alu instid0(VALU_DEP_1) | instskip(NEXT) | instid1(VALU_DEP_1)
	v_mov_b32_e32 v4, v19
	v_mad_nc_u64_u32 v[18:19], v13, 5, v[4:5]
	s_delay_alu instid0(VALU_DEP_1) | instskip(NEXT) | instid1(VALU_DEP_1)
	v_dual_mov_b32 v4, v19 :: v_dual_mov_b32 v19, v5
	v_mad_nc_u64_u32 v[18:19], v12, 2, v[18:19]
	s_delay_alu instid0(VALU_DEP_1) | instskip(NEXT) | instid1(VALU_DEP_1)
	v_dual_mov_b32 v18, v19 :: v_dual_mov_b32 v19, v5
	v_add_nc_u64_e32 v[18:19], v[4:5], v[18:19]
	s_delay_alu instid0(VALU_DEP_1) | instskip(NEXT) | instid1(VALU_DEP_1)
	v_mad_nc_u64_u32 v[18:19], v13, 2, v[18:19]
	v_sub_nc_u64_e32 v[20:21], v[12:13], v[18:19]
	s_delay_alu instid0(VALU_DEP_1) | instskip(NEXT) | instid1(VALU_DEP_1)
	v_lshrrev_b64 v[20:21], 1, v[20:21]
	v_add_nc_u64_e32 v[18:19], v[20:21], v[18:19]
	s_delay_alu instid0(VALU_DEP_1) | instskip(NEXT) | instid1(VALU_DEP_1)
	v_lshrrev_b64 v[18:19], 30, v[18:19]
	v_mul_u64_e32 v[18:19], 0x7fffffff, v[18:19]
	s_delay_alu instid0(VALU_DEP_1)
	v_sub_nc_u64_e32 v[12:13], v[12:13], v[18:19]
	s_branch .LBB27_88
.LBB27_91:
	s_or_b32 exec_lo, exec_lo, s15
	v_add_min_u32_e64 v3, 0x80000001, v8, v8
	s_delay_alu instid0(VALU_DEP_1)
	v_add_min_u32_e64 v3, 0x80000001, v3, v3
.LBB27_92:
	s_or_b32 exec_lo, exec_lo, s14
	v_mov_b32_e32 v14, 0
	s_movk_i32 s3, 0x1388
	s_brev_b32 s2, 12
.LBB27_93:                              ; =>This Inner Loop Header: Depth=1
	v_mul_hi_u32 v4, 0xbc8f1391, v3
	s_delay_alu instid0(VALU_DEP_1) | instskip(NEXT) | instid1(VALU_DEP_1)
	v_lshrrev_b32_e32 v4, 15, v4
	v_mul_u32_u24_e32 v5, 0xadc8, v4
	s_delay_alu instid0(VALU_DEP_1) | instskip(SKIP_1) | instid1(VALU_DEP_2)
	v_sub_nc_u32_e32 v3, v3, v5
	v_mul_u32_u24_e32 v4, 0xd47, v4
	v_mul_lo_u32 v3, 0xbc8f, v3
	s_delay_alu instid0(VALU_DEP_2) | instskip(SKIP_1) | instid1(VALU_DEP_3)
	v_xor_b32_e32 v5, 0x7fffffff, v4
	v_sub_nc_u32_e32 v6, 0, v4
	v_cmp_lt_u32_e32 vcc_lo, v3, v4
	s_delay_alu instid0(VALU_DEP_2) | instskip(NEXT) | instid1(VALU_DEP_1)
	v_cndmask_b32_e32 v4, v6, v5, vcc_lo
	v_add_nc_u32_e32 v3, v4, v3
	s_delay_alu instid0(VALU_DEP_1) | instskip(NEXT) | instid1(VALU_DEP_1)
	v_mul_hi_u32 v4, 0xbc8f1391, v3
	v_lshrrev_b32_e32 v4, 15, v4
	s_delay_alu instid0(VALU_DEP_1) | instskip(SKIP_1) | instid1(VALU_DEP_2)
	v_mul_u32_u24_e32 v5, 0xadc8, v4
	v_mul_u32_u24_e32 v4, 0xd47, v4
	v_sub_nc_u32_e32 v5, v3, v5
	s_delay_alu instid0(VALU_DEP_2) | instskip(SKIP_1) | instid1(VALU_DEP_3)
	v_xor_b32_e32 v6, 0x7fffffff, v4
	v_add_nc_u32_e32 v3, -1, v3
	v_mul_lo_u32 v5, 0xbc8f, v5
	v_sub_nc_u32_e32 v7, 0, v4
	s_delay_alu instid0(VALU_DEP_2) | instskip(NEXT) | instid1(VALU_DEP_2)
	v_cmp_lt_u32_e32 vcc_lo, v5, v4
	v_cndmask_b32_e32 v4, v7, v6, vcc_lo
	s_delay_alu instid0(VALU_DEP_1) | instskip(NEXT) | instid1(VALU_DEP_1)
	v_add_nc_u32_e32 v5, v4, v5
	v_mul_hi_u32 v4, 0xbc8f1391, v5
	s_delay_alu instid0(VALU_DEP_1) | instskip(NEXT) | instid1(VALU_DEP_1)
	v_lshrrev_b32_e32 v4, 15, v4
	v_mul_u32_u24_e32 v6, 0xadc8, v4
	v_mul_u32_u24_e32 v4, 0xd47, v4
	s_delay_alu instid0(VALU_DEP_2) | instskip(NEXT) | instid1(VALU_DEP_2)
	v_sub_nc_u32_e32 v6, v5, v6
	v_xor_b32_e32 v7, 0x7fffffff, v4
	s_delay_alu instid0(VALU_DEP_2) | instskip(SKIP_1) | instid1(VALU_DEP_2)
	v_mul_lo_u32 v6, 0xbc8f, v6
	v_sub_nc_u32_e32 v8, 0, v4
	v_cmp_lt_u32_e32 vcc_lo, v6, v4
	s_delay_alu instid0(VALU_DEP_2) | instskip(NEXT) | instid1(VALU_DEP_1)
	v_dual_cndmask_b32 v4, v8, v7, vcc_lo :: v_dual_add_f32 v8, 1.0, v14
	v_add_nc_u32_e32 v6, v4, v6
	s_delay_alu instid0(VALU_DEP_1) | instskip(NEXT) | instid1(VALU_DEP_1)
	v_mul_hi_u32 v4, 0xbc8f1391, v6
	v_lshrrev_b32_e32 v4, 15, v4
	s_delay_alu instid0(VALU_DEP_1) | instskip(SKIP_2) | instid1(VALU_DEP_3)
	v_mul_u32_u24_e32 v7, 0xadc8, v4
	v_mul_u32_u24_e32 v9, 0xd47, v4
	v_cvt_f32_u32_e32 v4, v3
	v_sub_nc_u32_e32 v7, v6, v7
	s_delay_alu instid0(VALU_DEP_3) | instskip(SKIP_1) | instid1(VALU_DEP_3)
	v_xor_b32_e32 v3, 0x7fffffff, v9
	v_dual_sub_nc_u32 v15, 0, v9 :: v_dual_add_nc_u32 v6, -1, v6
	v_mul_lo_u32 v7, 0xbc8f, v7
	s_delay_alu instid0(VALU_DEP_2) | instskip(NEXT) | instid1(VALU_DEP_2)
	v_cvt_f32_u32_e32 v6, v6
	v_cmp_lt_u32_e32 vcc_lo, v7, v9
	s_delay_alu instid0(VALU_DEP_4) | instskip(NEXT) | instid1(VALU_DEP_1)
	v_dual_add_nc_u32 v5, -1, v5 :: v_dual_cndmask_b32 v3, v15, v3, vcc_lo
	v_cvt_f32_u32_e32 v5, v5
	s_delay_alu instid0(VALU_DEP_2) | instskip(NEXT) | instid1(VALU_DEP_2)
	v_add_nc_u32_e32 v3, v3, v7
	v_pk_fma_f32 v[4:5], v[4:5], s[2:3], 0 op_sel_hi:[1,0,0]
	s_delay_alu instid0(VALU_DEP_1) | instskip(NEXT) | instid1(VALU_DEP_1)
	v_pk_mul_f32 v[4:5], v[4:5], v[4:5]
	v_dual_add_nc_u32 v7, -1, v3 :: v_dual_add_f32 v9, v4, v5
	s_delay_alu instid0(VALU_DEP_1) | instskip(NEXT) | instid1(VALU_DEP_2)
	v_cvt_f32_u32_e32 v7, v7
	v_cmp_gt_f32_e32 vcc_lo, 0xf800000, v9
	s_delay_alu instid0(VALU_DEP_2) | instskip(SKIP_1) | instid1(SALU_CYCLE_1)
	v_pk_fma_f32 v[4:5], v[6:7], s[2:3], 0 op_sel_hi:[1,0,0]
	s_add_co_i32 s3, s3, -2
	s_cmp_lg_u32 s3, 0
	s_delay_alu instid0(VALU_DEP_1) | instskip(NEXT) | instid1(VALU_DEP_1)
	v_pk_mul_f32 v[4:5], v[4:5], v[4:5]
	v_add_f32_e32 v4, v4, v5
	s_delay_alu instid0(VALU_DEP_1) | instskip(NEXT) | instid1(VALU_DEP_1)
	v_dual_mul_f32 v6, 0x4f800000, v9 :: v_dual_mul_f32 v7, 0x4f800000, v4
	v_cndmask_b32_e32 v6, v9, v6, vcc_lo
	v_cmp_gt_f32_e64 s0, 0xf800000, v4
	s_delay_alu instid0(VALU_DEP_2) | instskip(SKIP_1) | instid1(TRANS32_DEP_1)
	v_sqrt_f32_e32 v5, v6
	v_nop
	v_dual_add_nc_u32 v9, -1, v5 :: v_dual_cndmask_b32 v4, v4, v7, s0
	s_delay_alu instid0(VALU_DEP_1) | instskip(NEXT) | instid1(VALU_DEP_2)
	v_dual_add_nc_u32 v7, 1, v5 :: v_dual_fma_f32 v15, -v9, v5, v6
	v_sqrt_f32_e32 v16, v4
	s_delay_alu instid0(VALU_DEP_1) | instskip(NEXT) | instid1(VALU_DEP_2)
	v_fma_f32 v17, -v7, v5, v6
	v_cmp_ge_f32_e64 s1, 0, v15
	s_delay_alu instid0(TRANS32_DEP_1) | instid1(VALU_DEP_1)
	v_dual_cndmask_b32 v5, v5, v9, s1 :: v_dual_add_nc_u32 v9, -1, v16
	s_delay_alu instid0(VALU_DEP_3) | instskip(NEXT) | instid1(VALU_DEP_2)
	v_cmp_lt_f32_e64 s1, 0, v17
	v_fma_f32 v15, -v9, v16, v4
	s_delay_alu instid0(VALU_DEP_2) | instskip(NEXT) | instid1(VALU_DEP_2)
	v_dual_cndmask_b32 v5, v5, v7, s1 :: v_dual_add_nc_u32 v7, 1, v16
	v_cmp_ge_f32_e64 s1, 0, v15
	s_delay_alu instid0(VALU_DEP_1) | instskip(NEXT) | instid1(VALU_DEP_1)
	v_dual_fma_f32 v18, -v7, v16, v4 :: v_dual_cndmask_b32 v9, v16, v9, s1
	v_cmp_lt_f32_e64 s1, 0, v18
	s_delay_alu instid0(VALU_DEP_1) | instskip(SKIP_1) | instid1(VALU_DEP_1)
	v_cndmask_b32_e64 v7, v9, v7, s1
	v_mul_f32_e32 v17, 0x37800000, v5
	v_cndmask_b32_e32 v5, v5, v17, vcc_lo
	v_cmp_class_f32_e64 vcc_lo, v6, 0x260
	s_delay_alu instid0(VALU_DEP_2) | instskip(NEXT) | instid1(VALU_DEP_1)
	v_cndmask_b32_e32 v5, v5, v6, vcc_lo
	v_cmp_nge_f32_e32 vcc_lo, 1.0, v5
	v_dual_cndmask_b32 v5, v8, v14 :: v_dual_mul_f32 v6, 0x37800000, v7
	v_cmp_class_f32_e64 vcc_lo, v4, 0x260
	s_delay_alu instid0(VALU_DEP_2) | instskip(NEXT) | instid1(VALU_DEP_1)
	v_dual_cndmask_b32 v6, v7, v6, s0 :: v_dual_add_f32 v7, 1.0, v5
	v_cndmask_b32_e32 v4, v6, v4, vcc_lo
	s_delay_alu instid0(VALU_DEP_1) | instskip(NEXT) | instid1(VALU_DEP_3)
	v_cmp_nge_f32_e32 vcc_lo, 1.0, v4
	v_cndmask_b32_e32 v14, v7, v5, vcc_lo
	s_cbranch_scc1 .LBB27_93
; %bb.94:
	v_dual_mov_b32 v3, 1 :: v_dual_add_nc_u32 v4, 0x138800, v2
	s_mov_b32 s1, 0
	s_mov_b32 s14, exec_lo
	s_delay_alu instid0(VALU_DEP_1)
	v_cmpx_ne_u32_e32 0, v4
	s_cbranch_execz .LBB27_138
; %bb.95:
	v_mov_b32_e32 v5, 0
	v_mov_b64_e32 v[8:9], 1
	s_mov_b64 s[8:9], 0xbc8f
	s_mov_b64 s[2:3], 0xfffffffd
	;; [unrolled: 1-line block ×3, first 2 shown]
	v_mov_b64_e32 v[6:7], v[4:5]
	s_mov_b64 s[6:7], 0x80000001
	s_mov_b32 s15, 0
	s_branch .LBB27_97
.LBB27_96:                              ;   in Loop: Header=BB27_97 Depth=1
	s_or_b32 exec_lo, exec_lo, s0
	s_mul_u64 s[8:9], s[8:9], s[8:9]
	s_mov_b32 s17, s1
	s_and_b64 s[18:19], s[8:9], s[2:3]
	s_mov_b32 s0, s9
	s_mul_u64 s[22:23], s[18:19], 3
	s_mul_u64 s[24:25], s[0:1], 3
	s_mov_b32 s16, s23
	s_mul_u64 s[18:19], s[18:19], s[6:7]
	s_add_nc_u64 s[16:17], s[24:25], s[16:17]
	v_lshrrev_b64 v[16:17], 1, v[6:7]
	s_and_b64 s[24:25], s[16:17], s[4:5]
	s_mov_b32 s23, s1
	s_add_nc_u64 s[18:19], s[18:19], s[24:25]
	s_mov_b32 s27, s1
	s_mov_b32 s22, s17
	;; [unrolled: 1-line block ×3, first 2 shown]
	s_mul_u64 s[18:19], s[0:1], s[6:7]
	s_add_nc_u64 s[16:17], s[22:23], s[26:27]
	v_cmp_gt_u64_e32 vcc_lo, 2, v[6:7]
	s_add_nc_u64 s[16:17], s[18:19], s[16:17]
	v_mov_b64_e32 v[6:7], v[16:17]
	s_lshr_b64 s[16:17], s[16:17], 30
	s_delay_alu instid0(SALU_CYCLE_1)
	s_mul_u64 s[16:17], s[16:17], 0x7fffffff
	s_or_b32 s15, vcc_lo, s15
	s_sub_nc_u64 s[8:9], s[8:9], s[16:17]
	s_and_not1_b32 exec_lo, exec_lo, s15
	s_cbranch_execz .LBB27_137
.LBB27_97:                              ; =>This Inner Loop Header: Depth=1
	s_delay_alu instid0(VALU_DEP_1) | instskip(SKIP_1) | instid1(VALU_DEP_1)
	v_and_b32_e32 v3, 1, v6
	s_mov_b32 s0, exec_lo
	v_cmpx_eq_u32_e32 1, v3
	s_cbranch_execz .LBB27_96
; %bb.98:                               ;   in Loop: Header=BB27_97 Depth=1
	v_mul_u64_e32 v[8:9], s[8:9], v[8:9]
	s_delay_alu instid0(VALU_DEP_1) | instskip(NEXT) | instid1(VALU_DEP_1)
	v_mov_b32_e32 v4, v8
	v_mul_u64_e32 v[16:17], 5, v[4:5]
	s_delay_alu instid0(VALU_DEP_1) | instskip(NEXT) | instid1(VALU_DEP_1)
	v_mov_b32_e32 v4, v17
	v_mad_nc_u64_u32 v[16:17], v9, 5, v[4:5]
	s_delay_alu instid0(VALU_DEP_1) | instskip(NEXT) | instid1(VALU_DEP_1)
	v_dual_mov_b32 v4, v17 :: v_dual_mov_b32 v17, v5
	v_mad_nc_u64_u32 v[16:17], v8, 2, v[16:17]
	s_delay_alu instid0(VALU_DEP_1) | instskip(NEXT) | instid1(VALU_DEP_1)
	v_dual_mov_b32 v16, v17 :: v_dual_mov_b32 v17, v5
	v_add_nc_u64_e32 v[16:17], v[4:5], v[16:17]
	s_delay_alu instid0(VALU_DEP_1) | instskip(NEXT) | instid1(VALU_DEP_1)
	v_mad_nc_u64_u32 v[16:17], v9, 2, v[16:17]
	v_sub_nc_u64_e32 v[18:19], v[8:9], v[16:17]
	s_delay_alu instid0(VALU_DEP_1) | instskip(NEXT) | instid1(VALU_DEP_1)
	v_lshrrev_b64 v[18:19], 1, v[18:19]
	v_add_nc_u64_e32 v[16:17], v[18:19], v[16:17]
	s_delay_alu instid0(VALU_DEP_1) | instskip(NEXT) | instid1(VALU_DEP_1)
	v_lshrrev_b64 v[16:17], 30, v[16:17]
	v_mul_u64_e32 v[16:17], 0x7fffffff, v[16:17]
	s_delay_alu instid0(VALU_DEP_1)
	v_sub_nc_u64_e32 v[8:9], v[8:9], v[16:17]
	s_branch .LBB27_96
.LBB27_99:
	s_or_b32 exec_lo, exec_lo, s13
	v_add_min_u32_e64 v3, 0x80000001, v8, v8
	s_delay_alu instid0(VALU_DEP_1)
	v_add_min_u32_e64 v3, 0x80000001, v3, v3
.LBB27_100:
	s_or_b32 exec_lo, exec_lo, s12
	v_mov_b32_e32 v10, 0
	s_movk_i32 s3, 0x1388
	s_brev_b32 s2, 12
.LBB27_101:                             ; =>This Inner Loop Header: Depth=1
	v_mul_hi_u32 v4, 0xbc8f1391, v3
	s_delay_alu instid0(VALU_DEP_1) | instskip(NEXT) | instid1(VALU_DEP_1)
	v_lshrrev_b32_e32 v4, 15, v4
	v_mul_u32_u24_e32 v5, 0xadc8, v4
	s_delay_alu instid0(VALU_DEP_1) | instskip(SKIP_1) | instid1(VALU_DEP_2)
	v_sub_nc_u32_e32 v3, v3, v5
	v_mul_u32_u24_e32 v4, 0xd47, v4
	v_mul_lo_u32 v3, 0xbc8f, v3
	s_delay_alu instid0(VALU_DEP_2) | instskip(SKIP_1) | instid1(VALU_DEP_3)
	v_xor_b32_e32 v5, 0x7fffffff, v4
	v_sub_nc_u32_e32 v6, 0, v4
	v_cmp_lt_u32_e32 vcc_lo, v3, v4
	s_delay_alu instid0(VALU_DEP_2) | instskip(NEXT) | instid1(VALU_DEP_1)
	v_cndmask_b32_e32 v4, v6, v5, vcc_lo
	v_add_nc_u32_e32 v3, v4, v3
	s_delay_alu instid0(VALU_DEP_1) | instskip(NEXT) | instid1(VALU_DEP_1)
	v_mul_hi_u32 v4, 0xbc8f1391, v3
	v_lshrrev_b32_e32 v4, 15, v4
	s_delay_alu instid0(VALU_DEP_1) | instskip(SKIP_1) | instid1(VALU_DEP_2)
	v_mul_u32_u24_e32 v5, 0xadc8, v4
	v_mul_u32_u24_e32 v4, 0xd47, v4
	v_sub_nc_u32_e32 v5, v3, v5
	s_delay_alu instid0(VALU_DEP_2) | instskip(SKIP_1) | instid1(VALU_DEP_3)
	v_xor_b32_e32 v6, 0x7fffffff, v4
	v_add_nc_u32_e32 v3, -1, v3
	v_mul_lo_u32 v5, 0xbc8f, v5
	v_sub_nc_u32_e32 v7, 0, v4
	s_delay_alu instid0(VALU_DEP_2) | instskip(NEXT) | instid1(VALU_DEP_2)
	v_cmp_lt_u32_e32 vcc_lo, v5, v4
	v_cndmask_b32_e32 v4, v7, v6, vcc_lo
	s_delay_alu instid0(VALU_DEP_1) | instskip(NEXT) | instid1(VALU_DEP_1)
	v_add_nc_u32_e32 v5, v4, v5
	v_mul_hi_u32 v4, 0xbc8f1391, v5
	s_delay_alu instid0(VALU_DEP_1) | instskip(NEXT) | instid1(VALU_DEP_1)
	v_lshrrev_b32_e32 v4, 15, v4
	v_mul_u32_u24_e32 v6, 0xadc8, v4
	v_mul_u32_u24_e32 v4, 0xd47, v4
	s_delay_alu instid0(VALU_DEP_2) | instskip(NEXT) | instid1(VALU_DEP_2)
	v_sub_nc_u32_e32 v6, v5, v6
	v_xor_b32_e32 v7, 0x7fffffff, v4
	s_delay_alu instid0(VALU_DEP_2) | instskip(SKIP_1) | instid1(VALU_DEP_2)
	v_mul_lo_u32 v6, 0xbc8f, v6
	v_sub_nc_u32_e32 v8, 0, v4
	v_cmp_lt_u32_e32 vcc_lo, v6, v4
	s_delay_alu instid0(VALU_DEP_2) | instskip(NEXT) | instid1(VALU_DEP_1)
	v_dual_cndmask_b32 v4, v8, v7, vcc_lo :: v_dual_add_f32 v8, 1.0, v10
	v_add_nc_u32_e32 v6, v4, v6
	s_delay_alu instid0(VALU_DEP_1) | instskip(NEXT) | instid1(VALU_DEP_1)
	v_mul_hi_u32 v4, 0xbc8f1391, v6
	v_lshrrev_b32_e32 v4, 15, v4
	s_delay_alu instid0(VALU_DEP_1) | instskip(SKIP_2) | instid1(VALU_DEP_3)
	v_mul_u32_u24_e32 v7, 0xadc8, v4
	v_mul_u32_u24_e32 v9, 0xd47, v4
	v_cvt_f32_u32_e32 v4, v3
	v_sub_nc_u32_e32 v7, v6, v7
	s_delay_alu instid0(VALU_DEP_3) | instskip(SKIP_1) | instid1(VALU_DEP_3)
	v_xor_b32_e32 v3, 0x7fffffff, v9
	v_dual_sub_nc_u32 v11, 0, v9 :: v_dual_add_nc_u32 v6, -1, v6
	v_mul_lo_u32 v7, 0xbc8f, v7
	s_delay_alu instid0(VALU_DEP_2) | instskip(NEXT) | instid1(VALU_DEP_2)
	v_cvt_f32_u32_e32 v6, v6
	v_cmp_lt_u32_e32 vcc_lo, v7, v9
	s_delay_alu instid0(VALU_DEP_4) | instskip(NEXT) | instid1(VALU_DEP_1)
	v_dual_add_nc_u32 v5, -1, v5 :: v_dual_cndmask_b32 v3, v11, v3, vcc_lo
	v_cvt_f32_u32_e32 v5, v5
	s_delay_alu instid0(VALU_DEP_2) | instskip(NEXT) | instid1(VALU_DEP_2)
	v_add_nc_u32_e32 v3, v3, v7
	v_pk_fma_f32 v[4:5], v[4:5], s[2:3], 0 op_sel_hi:[1,0,0]
	s_delay_alu instid0(VALU_DEP_1) | instskip(NEXT) | instid1(VALU_DEP_1)
	v_pk_mul_f32 v[4:5], v[4:5], v[4:5]
	v_dual_add_nc_u32 v7, -1, v3 :: v_dual_add_f32 v9, v4, v5
	s_delay_alu instid0(VALU_DEP_1) | instskip(NEXT) | instid1(VALU_DEP_2)
	v_cvt_f32_u32_e32 v7, v7
	v_cmp_gt_f32_e32 vcc_lo, 0xf800000, v9
	s_delay_alu instid0(VALU_DEP_2) | instskip(SKIP_1) | instid1(SALU_CYCLE_1)
	v_pk_fma_f32 v[4:5], v[6:7], s[2:3], 0 op_sel_hi:[1,0,0]
	s_add_co_i32 s3, s3, -2
	s_cmp_lg_u32 s3, 0
	s_delay_alu instid0(VALU_DEP_1) | instskip(NEXT) | instid1(VALU_DEP_1)
	v_pk_mul_f32 v[4:5], v[4:5], v[4:5]
	v_add_f32_e32 v4, v4, v5
	s_delay_alu instid0(VALU_DEP_1) | instskip(NEXT) | instid1(VALU_DEP_1)
	v_dual_mul_f32 v6, 0x4f800000, v9 :: v_dual_mul_f32 v7, 0x4f800000, v4
	v_cndmask_b32_e32 v6, v9, v6, vcc_lo
	v_cmp_gt_f32_e64 s0, 0xf800000, v4
	s_delay_alu instid0(VALU_DEP_2) | instskip(SKIP_1) | instid1(TRANS32_DEP_1)
	v_sqrt_f32_e32 v5, v6
	v_nop
	v_dual_add_nc_u32 v9, -1, v5 :: v_dual_cndmask_b32 v4, v4, v7, s0
	s_delay_alu instid0(VALU_DEP_1) | instskip(NEXT) | instid1(VALU_DEP_2)
	v_dual_add_nc_u32 v7, 1, v5 :: v_dual_fma_f32 v11, -v9, v5, v6
	v_sqrt_f32_e32 v12, v4
	s_delay_alu instid0(VALU_DEP_1) | instskip(NEXT) | instid1(VALU_DEP_2)
	v_fma_f32 v13, -v7, v5, v6
	v_cmp_ge_f32_e64 s1, 0, v11
	s_delay_alu instid0(TRANS32_DEP_1) | instid1(VALU_DEP_1)
	v_dual_cndmask_b32 v5, v5, v9, s1 :: v_dual_add_nc_u32 v9, -1, v12
	s_delay_alu instid0(VALU_DEP_3) | instskip(NEXT) | instid1(VALU_DEP_2)
	v_cmp_lt_f32_e64 s1, 0, v13
	v_fma_f32 v11, -v9, v12, v4
	s_delay_alu instid0(VALU_DEP_2) | instskip(NEXT) | instid1(VALU_DEP_2)
	v_dual_cndmask_b32 v5, v5, v7, s1 :: v_dual_add_nc_u32 v7, 1, v12
	v_cmp_ge_f32_e64 s1, 0, v11
	s_delay_alu instid0(VALU_DEP_1) | instskip(NEXT) | instid1(VALU_DEP_1)
	v_dual_fma_f32 v14, -v7, v12, v4 :: v_dual_cndmask_b32 v9, v12, v9, s1
	v_cmp_lt_f32_e64 s1, 0, v14
	s_delay_alu instid0(VALU_DEP_1) | instskip(SKIP_1) | instid1(VALU_DEP_1)
	v_cndmask_b32_e64 v7, v9, v7, s1
	v_mul_f32_e32 v13, 0x37800000, v5
	v_cndmask_b32_e32 v5, v5, v13, vcc_lo
	v_cmp_class_f32_e64 vcc_lo, v6, 0x260
	s_delay_alu instid0(VALU_DEP_2) | instskip(NEXT) | instid1(VALU_DEP_1)
	v_cndmask_b32_e32 v5, v5, v6, vcc_lo
	v_cmp_nge_f32_e32 vcc_lo, 1.0, v5
	v_dual_cndmask_b32 v5, v8, v10 :: v_dual_mul_f32 v6, 0x37800000, v7
	v_cmp_class_f32_e64 vcc_lo, v4, 0x260
	s_delay_alu instid0(VALU_DEP_2) | instskip(NEXT) | instid1(VALU_DEP_1)
	v_dual_cndmask_b32 v6, v7, v6, s0 :: v_dual_add_f32 v7, 1.0, v5
	v_cndmask_b32_e32 v4, v6, v4, vcc_lo
	s_delay_alu instid0(VALU_DEP_1) | instskip(NEXT) | instid1(VALU_DEP_3)
	v_cmp_nge_f32_e32 vcc_lo, 1.0, v4
	v_cndmask_b32_e32 v10, v7, v5, vcc_lo
	s_cbranch_scc1 .LBB27_101
; %bb.102:
	v_dual_mov_b32 v3, 1 :: v_dual_add_nc_u32 v4, 0x138800, v2
	s_mov_b32 s1, 0
	s_mov_b32 s12, exec_lo
	s_delay_alu instid0(VALU_DEP_1)
	v_cmpx_ne_u32_e32 0, v4
	s_cbranch_execz .LBB27_146
; %bb.103:
	v_mov_b32_e32 v5, 0
	v_mov_b64_e32 v[8:9], 1
	s_mov_b64 s[8:9], 0xbc8f
	s_mov_b64 s[2:3], 0xfffffffd
	;; [unrolled: 1-line block ×3, first 2 shown]
	v_mov_b64_e32 v[6:7], v[4:5]
	s_mov_b64 s[6:7], 0x80000001
	s_mov_b32 s13, 0
	s_branch .LBB27_105
.LBB27_104:                             ;   in Loop: Header=BB27_105 Depth=1
	s_or_b32 exec_lo, exec_lo, s0
	s_mul_u64 s[8:9], s[8:9], s[8:9]
	s_mov_b32 s15, s1
	s_and_b64 s[16:17], s[8:9], s[2:3]
	s_mov_b32 s0, s9
	s_mul_u64 s[20:21], s[16:17], 3
	s_mul_u64 s[22:23], s[0:1], 3
	s_mov_b32 s14, s21
	s_mul_u64 s[16:17], s[16:17], s[6:7]
	s_add_nc_u64 s[14:15], s[22:23], s[14:15]
	v_lshrrev_b64 v[12:13], 1, v[6:7]
	s_and_b64 s[22:23], s[14:15], s[4:5]
	s_mov_b32 s21, s1
	s_add_nc_u64 s[16:17], s[16:17], s[22:23]
	s_mov_b32 s25, s1
	s_mov_b32 s20, s15
	;; [unrolled: 1-line block ×3, first 2 shown]
	s_mul_u64 s[16:17], s[0:1], s[6:7]
	s_add_nc_u64 s[14:15], s[20:21], s[24:25]
	v_cmp_gt_u64_e32 vcc_lo, 2, v[6:7]
	s_add_nc_u64 s[14:15], s[16:17], s[14:15]
	v_mov_b64_e32 v[6:7], v[12:13]
	s_lshr_b64 s[14:15], s[14:15], 30
	s_delay_alu instid0(SALU_CYCLE_1)
	s_mul_u64 s[14:15], s[14:15], 0x7fffffff
	s_or_b32 s13, vcc_lo, s13
	s_sub_nc_u64 s[8:9], s[8:9], s[14:15]
	s_and_not1_b32 exec_lo, exec_lo, s13
	s_cbranch_execz .LBB27_145
.LBB27_105:                             ; =>This Inner Loop Header: Depth=1
	s_delay_alu instid0(VALU_DEP_1) | instskip(SKIP_1) | instid1(VALU_DEP_1)
	v_and_b32_e32 v3, 1, v6
	s_mov_b32 s0, exec_lo
	v_cmpx_eq_u32_e32 1, v3
	s_cbranch_execz .LBB27_104
; %bb.106:                              ;   in Loop: Header=BB27_105 Depth=1
	v_mul_u64_e32 v[8:9], s[8:9], v[8:9]
	s_delay_alu instid0(VALU_DEP_1) | instskip(NEXT) | instid1(VALU_DEP_1)
	v_mov_b32_e32 v4, v8
	v_mul_u64_e32 v[12:13], 5, v[4:5]
	s_delay_alu instid0(VALU_DEP_1) | instskip(NEXT) | instid1(VALU_DEP_1)
	v_mov_b32_e32 v4, v13
	v_mad_nc_u64_u32 v[12:13], v9, 5, v[4:5]
	s_delay_alu instid0(VALU_DEP_1) | instskip(NEXT) | instid1(VALU_DEP_1)
	v_dual_mov_b32 v4, v13 :: v_dual_mov_b32 v13, v5
	v_mad_nc_u64_u32 v[12:13], v8, 2, v[12:13]
	s_delay_alu instid0(VALU_DEP_1) | instskip(NEXT) | instid1(VALU_DEP_1)
	v_dual_mov_b32 v12, v13 :: v_dual_mov_b32 v13, v5
	v_add_nc_u64_e32 v[12:13], v[4:5], v[12:13]
	s_delay_alu instid0(VALU_DEP_1) | instskip(NEXT) | instid1(VALU_DEP_1)
	v_mad_nc_u64_u32 v[12:13], v9, 2, v[12:13]
	v_sub_nc_u64_e32 v[14:15], v[8:9], v[12:13]
	s_delay_alu instid0(VALU_DEP_1) | instskip(NEXT) | instid1(VALU_DEP_1)
	v_lshrrev_b64 v[14:15], 1, v[14:15]
	v_add_nc_u64_e32 v[12:13], v[14:15], v[12:13]
	s_delay_alu instid0(VALU_DEP_1) | instskip(NEXT) | instid1(VALU_DEP_1)
	v_lshrrev_b64 v[12:13], 30, v[12:13]
	v_mul_u64_e32 v[12:13], 0x7fffffff, v[12:13]
	s_delay_alu instid0(VALU_DEP_1)
	v_sub_nc_u64_e32 v[8:9], v[8:9], v[12:13]
	s_branch .LBB27_104
.LBB27_107:
	s_or_b32 exec_lo, exec_lo, s13
	v_add_min_u32_e64 v1, 0x80000001, v6, v6
	s_delay_alu instid0(VALU_DEP_1)
	v_add_min_u32_e64 v1, 0x80000001, v1, v1
.LBB27_108:
	s_or_b32 exec_lo, exec_lo, s12
	v_mov_b32_e32 v8, 0
	s_movk_i32 s3, 0x1388
	s_brev_b32 s2, 12
.LBB27_109:                             ; =>This Inner Loop Header: Depth=1
	v_mul_hi_u32 v2, 0xbc8f1391, v1
	s_delay_alu instid0(VALU_DEP_1) | instskip(NEXT) | instid1(VALU_DEP_1)
	v_lshrrev_b32_e32 v2, 15, v2
	v_mul_u32_u24_e32 v3, 0xadc8, v2
	s_delay_alu instid0(VALU_DEP_1) | instskip(SKIP_1) | instid1(VALU_DEP_2)
	v_sub_nc_u32_e32 v1, v1, v3
	v_mul_u32_u24_e32 v2, 0xd47, v2
	v_mul_lo_u32 v1, 0xbc8f, v1
	s_delay_alu instid0(VALU_DEP_2) | instskip(SKIP_1) | instid1(VALU_DEP_3)
	v_xor_b32_e32 v3, 0x7fffffff, v2
	v_sub_nc_u32_e32 v4, 0, v2
	v_cmp_lt_u32_e32 vcc_lo, v1, v2
	s_delay_alu instid0(VALU_DEP_2) | instskip(NEXT) | instid1(VALU_DEP_1)
	v_cndmask_b32_e32 v2, v4, v3, vcc_lo
	v_add_nc_u32_e32 v1, v2, v1
	s_delay_alu instid0(VALU_DEP_1) | instskip(NEXT) | instid1(VALU_DEP_1)
	v_mul_hi_u32 v2, 0xbc8f1391, v1
	v_lshrrev_b32_e32 v2, 15, v2
	s_delay_alu instid0(VALU_DEP_1) | instskip(SKIP_1) | instid1(VALU_DEP_2)
	v_mul_u32_u24_e32 v3, 0xadc8, v2
	v_mul_u32_u24_e32 v2, 0xd47, v2
	v_sub_nc_u32_e32 v3, v1, v3
	s_delay_alu instid0(VALU_DEP_2) | instskip(SKIP_1) | instid1(VALU_DEP_3)
	v_xor_b32_e32 v4, 0x7fffffff, v2
	v_add_nc_u32_e32 v1, -1, v1
	v_mul_lo_u32 v3, 0xbc8f, v3
	v_sub_nc_u32_e32 v5, 0, v2
	s_delay_alu instid0(VALU_DEP_2) | instskip(NEXT) | instid1(VALU_DEP_2)
	v_cmp_lt_u32_e32 vcc_lo, v3, v2
	v_cndmask_b32_e32 v2, v5, v4, vcc_lo
	s_delay_alu instid0(VALU_DEP_1) | instskip(NEXT) | instid1(VALU_DEP_1)
	v_add_nc_u32_e32 v3, v2, v3
	v_mul_hi_u32 v2, 0xbc8f1391, v3
	s_delay_alu instid0(VALU_DEP_1) | instskip(NEXT) | instid1(VALU_DEP_1)
	v_lshrrev_b32_e32 v2, 15, v2
	v_mul_u32_u24_e32 v4, 0xadc8, v2
	v_mul_u32_u24_e32 v2, 0xd47, v2
	s_delay_alu instid0(VALU_DEP_2) | instskip(NEXT) | instid1(VALU_DEP_2)
	v_sub_nc_u32_e32 v4, v3, v4
	v_xor_b32_e32 v5, 0x7fffffff, v2
	s_delay_alu instid0(VALU_DEP_2) | instskip(SKIP_1) | instid1(VALU_DEP_2)
	v_mul_lo_u32 v4, 0xbc8f, v4
	v_sub_nc_u32_e32 v6, 0, v2
	v_cmp_lt_u32_e32 vcc_lo, v4, v2
	s_delay_alu instid0(VALU_DEP_2) | instskip(NEXT) | instid1(VALU_DEP_1)
	v_dual_cndmask_b32 v2, v6, v5, vcc_lo :: v_dual_add_f32 v6, 1.0, v8
	v_add_nc_u32_e32 v4, v2, v4
	s_delay_alu instid0(VALU_DEP_1) | instskip(NEXT) | instid1(VALU_DEP_1)
	v_mul_hi_u32 v2, 0xbc8f1391, v4
	v_lshrrev_b32_e32 v2, 15, v2
	s_delay_alu instid0(VALU_DEP_1) | instskip(SKIP_2) | instid1(VALU_DEP_3)
	v_mul_u32_u24_e32 v5, 0xadc8, v2
	v_mul_u32_u24_e32 v7, 0xd47, v2
	v_cvt_f32_u32_e32 v2, v1
	v_sub_nc_u32_e32 v5, v4, v5
	s_delay_alu instid0(VALU_DEP_3) | instskip(SKIP_1) | instid1(VALU_DEP_3)
	v_xor_b32_e32 v1, 0x7fffffff, v7
	v_dual_sub_nc_u32 v9, 0, v7 :: v_dual_add_nc_u32 v4, -1, v4
	v_mul_lo_u32 v5, 0xbc8f, v5
	s_delay_alu instid0(VALU_DEP_2) | instskip(NEXT) | instid1(VALU_DEP_2)
	v_cvt_f32_u32_e32 v4, v4
	v_cmp_lt_u32_e32 vcc_lo, v5, v7
	s_delay_alu instid0(VALU_DEP_4) | instskip(NEXT) | instid1(VALU_DEP_1)
	v_dual_add_nc_u32 v3, -1, v3 :: v_dual_cndmask_b32 v1, v9, v1, vcc_lo
	v_cvt_f32_u32_e32 v3, v3
	s_delay_alu instid0(VALU_DEP_2) | instskip(NEXT) | instid1(VALU_DEP_2)
	v_add_nc_u32_e32 v1, v1, v5
	v_pk_fma_f32 v[2:3], v[2:3], s[2:3], 0 op_sel_hi:[1,0,0]
	s_delay_alu instid0(VALU_DEP_1) | instskip(NEXT) | instid1(VALU_DEP_1)
	v_pk_mul_f32 v[2:3], v[2:3], v[2:3]
	v_dual_add_nc_u32 v5, -1, v1 :: v_dual_add_f32 v7, v2, v3
	s_delay_alu instid0(VALU_DEP_1) | instskip(NEXT) | instid1(VALU_DEP_2)
	v_cvt_f32_u32_e32 v5, v5
	v_cmp_gt_f32_e32 vcc_lo, 0xf800000, v7
	s_delay_alu instid0(VALU_DEP_2) | instskip(SKIP_1) | instid1(SALU_CYCLE_1)
	v_pk_fma_f32 v[2:3], v[4:5], s[2:3], 0 op_sel_hi:[1,0,0]
	s_add_co_i32 s3, s3, -2
	s_cmp_lg_u32 s3, 0
	s_delay_alu instid0(VALU_DEP_1) | instskip(NEXT) | instid1(VALU_DEP_1)
	v_pk_mul_f32 v[2:3], v[2:3], v[2:3]
	v_add_f32_e32 v2, v2, v3
	s_delay_alu instid0(VALU_DEP_1) | instskip(NEXT) | instid1(VALU_DEP_1)
	v_dual_mul_f32 v4, 0x4f800000, v7 :: v_dual_mul_f32 v5, 0x4f800000, v2
	v_cndmask_b32_e32 v4, v7, v4, vcc_lo
	v_cmp_gt_f32_e64 s0, 0xf800000, v2
	s_delay_alu instid0(VALU_DEP_2) | instskip(SKIP_1) | instid1(TRANS32_DEP_1)
	v_sqrt_f32_e32 v3, v4
	v_nop
	v_dual_add_nc_u32 v7, -1, v3 :: v_dual_cndmask_b32 v2, v2, v5, s0
	s_delay_alu instid0(VALU_DEP_1) | instskip(NEXT) | instid1(VALU_DEP_2)
	v_dual_add_nc_u32 v5, 1, v3 :: v_dual_fma_f32 v9, -v7, v3, v4
	v_sqrt_f32_e32 v10, v2
	s_delay_alu instid0(VALU_DEP_1) | instskip(NEXT) | instid1(VALU_DEP_2)
	v_fma_f32 v11, -v5, v3, v4
	v_cmp_ge_f32_e64 s1, 0, v9
	s_delay_alu instid0(TRANS32_DEP_1) | instid1(VALU_DEP_1)
	v_dual_cndmask_b32 v3, v3, v7, s1 :: v_dual_add_nc_u32 v7, -1, v10
	s_delay_alu instid0(VALU_DEP_3) | instskip(NEXT) | instid1(VALU_DEP_2)
	v_cmp_lt_f32_e64 s1, 0, v11
	v_fma_f32 v9, -v7, v10, v2
	s_delay_alu instid0(VALU_DEP_2) | instskip(NEXT) | instid1(VALU_DEP_2)
	v_dual_cndmask_b32 v3, v3, v5, s1 :: v_dual_add_nc_u32 v5, 1, v10
	v_cmp_ge_f32_e64 s1, 0, v9
	s_delay_alu instid0(VALU_DEP_1) | instskip(NEXT) | instid1(VALU_DEP_1)
	v_dual_fma_f32 v12, -v5, v10, v2 :: v_dual_cndmask_b32 v7, v10, v7, s1
	v_cmp_lt_f32_e64 s1, 0, v12
	s_delay_alu instid0(VALU_DEP_1) | instskip(SKIP_1) | instid1(VALU_DEP_1)
	v_cndmask_b32_e64 v5, v7, v5, s1
	v_mul_f32_e32 v11, 0x37800000, v3
	v_cndmask_b32_e32 v3, v3, v11, vcc_lo
	v_cmp_class_f32_e64 vcc_lo, v4, 0x260
	s_delay_alu instid0(VALU_DEP_2) | instskip(NEXT) | instid1(VALU_DEP_1)
	v_cndmask_b32_e32 v3, v3, v4, vcc_lo
	v_cmp_nge_f32_e32 vcc_lo, 1.0, v3
	v_dual_cndmask_b32 v3, v6, v8 :: v_dual_mul_f32 v4, 0x37800000, v5
	v_cmp_class_f32_e64 vcc_lo, v2, 0x260
	s_delay_alu instid0(VALU_DEP_2) | instskip(NEXT) | instid1(VALU_DEP_1)
	v_dual_cndmask_b32 v4, v5, v4, s0 :: v_dual_add_f32 v5, 1.0, v3
	v_cndmask_b32_e32 v2, v4, v2, vcc_lo
	s_delay_alu instid0(VALU_DEP_1) | instskip(NEXT) | instid1(VALU_DEP_3)
	v_cmp_nge_f32_e32 vcc_lo, 1.0, v2
	v_cndmask_b32_e32 v8, v5, v3, vcc_lo
	s_cbranch_scc1 .LBB27_109
; %bb.110:
	v_dual_mov_b32 v1, 1 :: v_dual_add_nc_u32 v2, 0x138800, v0
	s_mov_b32 s1, 0
	s_mov_b32 s12, exec_lo
	s_delay_alu instid0(VALU_DEP_1)
	v_cmpx_ne_u32_e32 0, v2
	s_cbranch_execz .LBB27_154
; %bb.111:
	v_mov_b32_e32 v3, 0
	v_mov_b64_e32 v[6:7], 1
	s_mov_b64 s[8:9], 0xbc8f
	s_mov_b64 s[2:3], 0xfffffffd
	;; [unrolled: 1-line block ×3, first 2 shown]
	v_mov_b64_e32 v[4:5], v[2:3]
	s_mov_b64 s[6:7], 0x80000001
	s_mov_b32 s13, 0
	s_branch .LBB27_113
.LBB27_112:                             ;   in Loop: Header=BB27_113 Depth=1
	s_or_b32 exec_lo, exec_lo, s0
	s_mul_u64 s[8:9], s[8:9], s[8:9]
	s_mov_b32 s15, s1
	s_and_b64 s[16:17], s[8:9], s[2:3]
	s_mov_b32 s0, s9
	s_mul_u64 s[18:19], s[16:17], 3
	s_mul_u64 s[20:21], s[0:1], 3
	s_mov_b32 s14, s19
	s_mul_u64 s[16:17], s[16:17], s[6:7]
	s_add_nc_u64 s[14:15], s[20:21], s[14:15]
	v_lshrrev_b64 v[10:11], 1, v[4:5]
	s_and_b64 s[20:21], s[14:15], s[4:5]
	s_mov_b32 s19, s1
	s_add_nc_u64 s[16:17], s[16:17], s[20:21]
	s_mov_b32 s23, s1
	s_mov_b32 s18, s15
	;; [unrolled: 1-line block ×3, first 2 shown]
	s_mul_u64 s[16:17], s[0:1], s[6:7]
	s_add_nc_u64 s[14:15], s[18:19], s[22:23]
	v_cmp_gt_u64_e32 vcc_lo, 2, v[4:5]
	s_add_nc_u64 s[14:15], s[16:17], s[14:15]
	v_mov_b64_e32 v[4:5], v[10:11]
	s_lshr_b64 s[14:15], s[14:15], 30
	s_delay_alu instid0(SALU_CYCLE_1)
	s_mul_u64 s[14:15], s[14:15], 0x7fffffff
	s_or_b32 s13, vcc_lo, s13
	s_sub_nc_u64 s[8:9], s[8:9], s[14:15]
	s_and_not1_b32 exec_lo, exec_lo, s13
	s_cbranch_execz .LBB27_153
.LBB27_113:                             ; =>This Inner Loop Header: Depth=1
	s_delay_alu instid0(VALU_DEP_1) | instskip(SKIP_1) | instid1(VALU_DEP_1)
	v_and_b32_e32 v1, 1, v4
	s_mov_b32 s0, exec_lo
	v_cmpx_eq_u32_e32 1, v1
	s_cbranch_execz .LBB27_112
; %bb.114:                              ;   in Loop: Header=BB27_113 Depth=1
	v_mul_u64_e32 v[6:7], s[8:9], v[6:7]
	s_delay_alu instid0(VALU_DEP_1) | instskip(NEXT) | instid1(VALU_DEP_1)
	v_mov_b32_e32 v2, v6
	v_mul_u64_e32 v[10:11], 5, v[2:3]
	s_delay_alu instid0(VALU_DEP_1) | instskip(NEXT) | instid1(VALU_DEP_1)
	v_mov_b32_e32 v2, v11
	v_mad_nc_u64_u32 v[10:11], v7, 5, v[2:3]
	s_delay_alu instid0(VALU_DEP_1) | instskip(NEXT) | instid1(VALU_DEP_1)
	v_dual_mov_b32 v2, v11 :: v_dual_mov_b32 v11, v3
	v_mad_nc_u64_u32 v[10:11], v6, 2, v[10:11]
	s_delay_alu instid0(VALU_DEP_1) | instskip(NEXT) | instid1(VALU_DEP_1)
	v_dual_mov_b32 v10, v11 :: v_dual_mov_b32 v11, v3
	v_add_nc_u64_e32 v[10:11], v[2:3], v[10:11]
	s_delay_alu instid0(VALU_DEP_1) | instskip(NEXT) | instid1(VALU_DEP_1)
	v_mad_nc_u64_u32 v[10:11], v7, 2, v[10:11]
	v_sub_nc_u64_e32 v[12:13], v[6:7], v[10:11]
	s_delay_alu instid0(VALU_DEP_1) | instskip(NEXT) | instid1(VALU_DEP_1)
	v_lshrrev_b64 v[12:13], 1, v[12:13]
	v_add_nc_u64_e32 v[10:11], v[12:13], v[10:11]
	s_delay_alu instid0(VALU_DEP_1) | instskip(NEXT) | instid1(VALU_DEP_1)
	v_lshrrev_b64 v[10:11], 30, v[10:11]
	v_mul_u64_e32 v[10:11], 0x7fffffff, v[10:11]
	s_delay_alu instid0(VALU_DEP_1)
	v_sub_nc_u64_e32 v[6:7], v[6:7], v[10:11]
	s_branch .LBB27_112
.LBB27_115:
	s_or_b32 exec_lo, exec_lo, s16
	v_add_min_u32_e64 v6, 0x80000001, v10, v10
	s_delay_alu instid0(VALU_DEP_1)
	v_add_min_u32_e64 v7, 0x80000001, v6, v6
.LBB27_116:
	s_or_b32 exec_lo, exec_lo, s15
	v_mov_b32_e32 v6, 0
	s_movk_i32 s3, 0x1388
	s_brev_b32 s2, 12
.LBB27_117:                             ; =>This Inner Loop Header: Depth=1
	v_mul_hi_u32 v8, 0xbc8f1391, v7
	s_delay_alu instid0(VALU_DEP_1) | instskip(NEXT) | instid1(VALU_DEP_1)
	v_lshrrev_b32_e32 v8, 15, v8
	v_mul_u32_u24_e32 v9, 0xadc8, v8
	s_delay_alu instid0(VALU_DEP_1) | instskip(SKIP_1) | instid1(VALU_DEP_2)
	v_sub_nc_u32_e32 v7, v7, v9
	v_mul_u32_u24_e32 v8, 0xd47, v8
	v_mul_lo_u32 v7, 0xbc8f, v7
	s_delay_alu instid0(VALU_DEP_2) | instskip(SKIP_1) | instid1(VALU_DEP_3)
	v_xor_b32_e32 v9, 0x7fffffff, v8
	v_sub_nc_u32_e32 v10, 0, v8
	v_cmp_lt_u32_e32 vcc_lo, v7, v8
	s_delay_alu instid0(VALU_DEP_2) | instskip(NEXT) | instid1(VALU_DEP_1)
	v_cndmask_b32_e32 v8, v10, v9, vcc_lo
	v_add_nc_u32_e32 v7, v8, v7
	s_delay_alu instid0(VALU_DEP_1) | instskip(NEXT) | instid1(VALU_DEP_1)
	v_mul_hi_u32 v8, 0xbc8f1391, v7
	v_lshrrev_b32_e32 v8, 15, v8
	s_delay_alu instid0(VALU_DEP_1) | instskip(SKIP_1) | instid1(VALU_DEP_2)
	v_mul_u32_u24_e32 v9, 0xadc8, v8
	v_mul_u32_u24_e32 v8, 0xd47, v8
	v_sub_nc_u32_e32 v9, v7, v9
	s_delay_alu instid0(VALU_DEP_2) | instskip(SKIP_1) | instid1(VALU_DEP_3)
	v_xor_b32_e32 v10, 0x7fffffff, v8
	v_add_nc_u32_e32 v7, -1, v7
	v_mul_lo_u32 v9, 0xbc8f, v9
	v_sub_nc_u32_e32 v11, 0, v8
	s_delay_alu instid0(VALU_DEP_2) | instskip(NEXT) | instid1(VALU_DEP_2)
	v_cmp_lt_u32_e32 vcc_lo, v9, v8
	v_cndmask_b32_e32 v8, v11, v10, vcc_lo
	s_delay_alu instid0(VALU_DEP_1) | instskip(NEXT) | instid1(VALU_DEP_1)
	v_add_nc_u32_e32 v9, v8, v9
	v_mul_hi_u32 v8, 0xbc8f1391, v9
	s_delay_alu instid0(VALU_DEP_1) | instskip(NEXT) | instid1(VALU_DEP_1)
	v_lshrrev_b32_e32 v8, 15, v8
	v_mul_u32_u24_e32 v10, 0xadc8, v8
	v_mul_u32_u24_e32 v8, 0xd47, v8
	s_delay_alu instid0(VALU_DEP_2) | instskip(NEXT) | instid1(VALU_DEP_2)
	v_sub_nc_u32_e32 v10, v9, v10
	v_xor_b32_e32 v11, 0x7fffffff, v8
	v_add_nc_u32_e32 v9, -1, v9
	s_delay_alu instid0(VALU_DEP_3) | instskip(SKIP_1) | instid1(VALU_DEP_3)
	v_mul_lo_u32 v10, 0xbc8f, v10
	v_sub_nc_u32_e32 v13, 0, v8
	v_cvt_f32_u32_e32 v9, v9
	s_delay_alu instid0(VALU_DEP_3) | instskip(NEXT) | instid1(VALU_DEP_3)
	v_cmp_lt_u32_e32 vcc_lo, v10, v8
	v_dual_cndmask_b32 v8, v13, v11 :: v_dual_add_f32 v13, 1.0, v6
	s_delay_alu instid0(VALU_DEP_1) | instskip(NEXT) | instid1(VALU_DEP_1)
	v_add_nc_u32_e32 v10, v8, v10
	v_mul_hi_u32 v8, 0xbc8f1391, v10
	s_delay_alu instid0(VALU_DEP_1) | instskip(NEXT) | instid1(VALU_DEP_1)
	v_lshrrev_b32_e32 v8, 15, v8
	v_mul_u32_u24_e32 v11, 0xadc8, v8
	v_mul_u32_u24_e32 v15, 0xd47, v8
	v_cvt_f32_u32_e32 v8, v7
	s_delay_alu instid0(VALU_DEP_3) | instskip(NEXT) | instid1(VALU_DEP_3)
	v_sub_nc_u32_e32 v11, v10, v11
	v_xor_b32_e32 v7, 0x7fffffff, v15
	s_delay_alu instid0(VALU_DEP_3) | instskip(SKIP_1) | instid1(VALU_DEP_4)
	v_pk_fma_f32 v[8:9], v[8:9], s[2:3], 0 op_sel_hi:[1,0,0]
	v_dual_sub_nc_u32 v16, 0, v15 :: v_dual_add_nc_u32 v10, -1, v10
	v_mul_lo_u32 v11, 0xbc8f, v11
	s_delay_alu instid0(VALU_DEP_3) | instskip(NEXT) | instid1(VALU_DEP_3)
	v_pk_mul_f32 v[8:9], v[8:9], v[8:9]
	v_cvt_f32_u32_e32 v10, v10
	s_delay_alu instid0(VALU_DEP_3) | instskip(NEXT) | instid1(VALU_DEP_3)
	v_cmp_lt_u32_e32 vcc_lo, v11, v15
	v_add_f32_e32 v15, v8, v9
	v_cndmask_b32_e32 v7, v16, v7, vcc_lo
	s_delay_alu instid0(VALU_DEP_1) | instskip(NEXT) | instid1(VALU_DEP_1)
	v_add_nc_u32_e32 v7, v7, v11
	v_add_nc_u32_e32 v11, -1, v7
	s_delay_alu instid0(VALU_DEP_1) | instskip(NEXT) | instid1(VALU_DEP_1)
	v_cvt_f32_u32_e32 v11, v11
	v_pk_fma_f32 v[8:9], v[10:11], s[2:3], 0 op_sel_hi:[1,0,0]
	s_add_co_i32 s3, s3, -2
	s_delay_alu instid0(SALU_CYCLE_1) | instskip(NEXT) | instid1(VALU_DEP_1)
	s_cmp_lg_u32 s3, 0
	v_pk_mul_f32 v[8:9], v[8:9], v[8:9]
	s_delay_alu instid0(VALU_DEP_1) | instskip(NEXT) | instid1(VALU_DEP_1)
	v_add_f32_e32 v8, v8, v9
	v_mul_f32_e32 v11, 0x4f800000, v8
	v_cmp_gt_f32_e64 s0, 0xf800000, v8
	s_delay_alu instid0(VALU_DEP_1) | instskip(SKIP_2) | instid1(VALU_DEP_3)
	v_cndmask_b32_e64 v8, v8, v11, s0
	v_mul_f32_e32 v10, 0x4f800000, v15
	v_cmp_gt_f32_e32 vcc_lo, 0xf800000, v15
	v_sqrt_f32_e32 v17, v8
	s_delay_alu instid0(VALU_DEP_2) | instskip(NEXT) | instid1(VALU_DEP_1)
	v_cndmask_b32_e32 v10, v15, v10, vcc_lo
	v_sqrt_f32_e32 v9, v10
	v_nop
	s_delay_alu instid0(TRANS32_DEP_1) | instskip(NEXT) | instid1(VALU_DEP_1)
	v_dual_add_nc_u32 v15, -1, v9 :: v_dual_add_nc_u32 v11, 1, v9
	v_fma_f32 v16, -v15, v9, v10
	s_delay_alu instid0(VALU_DEP_2) | instskip(NEXT) | instid1(VALU_DEP_2)
	v_fma_f32 v18, -v11, v9, v10
	v_cmp_ge_f32_e64 s1, 0, v16
	s_delay_alu instid0(VALU_DEP_1) | instskip(NEXT) | instid1(VALU_DEP_3)
	v_cndmask_b32_e64 v9, v9, v15, s1
	v_cmp_lt_f32_e64 s1, 0, v18
	s_delay_alu instid0(VALU_DEP_1) | instskip(NEXT) | instid1(VALU_DEP_1)
	v_dual_add_nc_u32 v15, -1, v17 :: v_dual_cndmask_b32 v9, v9, v11, s1
	v_dual_add_nc_u32 v11, 1, v17 :: v_dual_fma_f32 v16, -v15, v17, v8
	s_delay_alu instid0(VALU_DEP_2) | instskip(NEXT) | instid1(VALU_DEP_2)
	v_mul_f32_e32 v18, 0x37800000, v9
	v_fma_f32 v19, -v11, v17, v8
	s_delay_alu instid0(VALU_DEP_3) | instskip(NEXT) | instid1(VALU_DEP_3)
	v_cmp_ge_f32_e64 s1, 0, v16
	v_cndmask_b32_e32 v9, v9, v18, vcc_lo
	v_cmp_class_f32_e64 vcc_lo, v10, 0x260
	s_delay_alu instid0(VALU_DEP_3) | instskip(SKIP_1) | instid1(VALU_DEP_4)
	v_cndmask_b32_e64 v15, v17, v15, s1
	v_cmp_lt_f32_e64 s1, 0, v19
	v_cndmask_b32_e32 v9, v9, v10, vcc_lo
	s_delay_alu instid0(VALU_DEP_1) | instskip(NEXT) | instid1(VALU_DEP_3)
	v_cmp_nge_f32_e32 vcc_lo, 1.0, v9
	v_dual_cndmask_b32 v6, v13, v6, vcc_lo :: v_dual_cndmask_b32 v11, v15, v11, s1
	v_cmp_class_f32_e64 vcc_lo, v8, 0x260
	s_delay_alu instid0(VALU_DEP_2) | instskip(NEXT) | instid1(VALU_DEP_1)
	v_mul_f32_e32 v10, 0x37800000, v11
	v_cndmask_b32_e64 v9, v11, v10, s0
	s_delay_alu instid0(VALU_DEP_1) | instskip(NEXT) | instid1(VALU_DEP_1)
	v_dual_add_f32 v10, 1.0, v6 :: v_dual_cndmask_b32 v8, v9, v8, vcc_lo
	v_cmp_nge_f32_e32 vcc_lo, 1.0, v8
	s_delay_alu instid0(VALU_DEP_2)
	v_cndmask_b32_e32 v6, v10, v6, vcc_lo
	s_cbranch_scc1 .LBB27_117
; %bb.118:
	s_delay_alu instid0(VALU_DEP_1) | instskip(NEXT) | instid1(VALU_DEP_1)
	v_dual_mul_f32 v7, 4.0, v12 :: v_dual_mul_f32 v6, 4.0, v6
	v_div_scale_f32 v8, null, 0x459c4000, 0x459c4000, v7
	s_delay_alu instid0(VALU_DEP_2) | instskip(SKIP_1) | instid1(VALU_DEP_3)
	v_div_scale_f32 v9, null, 0x459c4000, 0x459c4000, v6
	v_div_scale_f32 v15, vcc_lo, v7, 0x459c4000, v7
	v_rcp_f32_e32 v10, v8
	s_delay_alu instid0(VALU_DEP_2) | instskip(NEXT) | instid1(TRANS32_DEP_2)
	v_rcp_f32_e32 v11, v9
	v_fma_f32 v12, -v8, v10, 1.0
	s_delay_alu instid0(TRANS32_DEP_1) | instskip(NEXT) | instid1(VALU_DEP_1)
	v_fma_f32 v13, -v9, v11, 1.0
	v_dual_fmac_f32 v10, v12, v10 :: v_dual_fmac_f32 v11, v13, v11
	v_div_scale_f32 v12, s0, v6, 0x459c4000, v6
	s_delay_alu instid0(VALU_DEP_1) | instskip(NEXT) | instid1(VALU_DEP_1)
	v_dual_mul_f32 v13, v15, v10 :: v_dual_mul_f32 v16, v12, v11
	v_dual_fma_f32 v17, -v8, v13, v15 :: v_dual_fma_f32 v18, -v9, v16, v12
	s_delay_alu instid0(VALU_DEP_1) | instskip(NEXT) | instid1(VALU_DEP_1)
	v_dual_fmac_f32 v13, v17, v10 :: v_dual_fmac_f32 v16, v18, v11
	v_dual_fma_f32 v8, -v8, v13, v15 :: v_dual_fma_f32 v9, -v9, v16, v12
	s_delay_alu instid0(VALU_DEP_1) | instskip(SKIP_2) | instid1(VALU_DEP_2)
	v_div_fmas_f32 v8, v8, v10, v13
	s_mov_b32 vcc_lo, s0
	s_mov_b32 s0, exec_lo
	v_div_fmas_f32 v9, v9, v11, v16
	s_delay_alu instid0(VALU_DEP_2) | instskip(NEXT) | instid1(VALU_DEP_2)
	v_div_fixup_f32 v7, v8, 0x459c4000, v7
	v_div_fixup_f32 v6, v9, 0x459c4000, v6
	s_delay_alu instid0(VALU_DEP_1) | instskip(NEXT) | instid1(VALU_DEP_1)
	v_add_f32_e32 v6, v7, v6
	v_mov_b32_dpp v7, v6 quad_perm:[1,0,3,2] row_mask:0xf bank_mask:0xf
	s_delay_alu instid0(VALU_DEP_1) | instskip(NEXT) | instid1(VALU_DEP_1)
	v_add_f32_e32 v6, v6, v7
	v_mov_b32_dpp v7, v6 quad_perm:[2,3,0,1] row_mask:0xf bank_mask:0xf
	s_delay_alu instid0(VALU_DEP_1) | instskip(NEXT) | instid1(VALU_DEP_1)
	v_add_f32_e32 v6, v6, v7
	v_mov_b32_dpp v7, v6 row_ror:4 row_mask:0xf bank_mask:0xf
	s_delay_alu instid0(VALU_DEP_1) | instskip(NEXT) | instid1(VALU_DEP_1)
	v_add_f32_e32 v6, v6, v7
	v_mov_b32_dpp v7, v6 row_ror:8 row_mask:0xf bank_mask:0xf
	s_delay_alu instid0(VALU_DEP_1)
	v_add_f32_e32 v6, v6, v7
	ds_swizzle_b32 v7, v6 offset:swizzle(BROADCAST,32,15)
	s_wait_dscnt 0x0
	v_dual_add_f32 v6, v6, v7 :: v_dual_mov_b32 v7, 0
	ds_bpermute_b32 v6, v7, v6 offset:124
	v_mbcnt_lo_u32_b32 v7, -1, 0
	s_delay_alu instid0(VALU_DEP_1)
	v_cmpx_eq_u32_e32 0, v7
	s_cbranch_execz .LBB27_120
; %bb.119:
	v_lshrrev_b32_e32 v8, 3, v50
	s_delay_alu instid0(VALU_DEP_1)
	v_and_b32_e32 v8, 0x7c, v8
	s_wait_dscnt 0x0
	ds_store_b32 v8, v6 offset:64
.LBB27_120:
	s_or_b32 exec_lo, exec_lo, s0
	s_delay_alu instid0(SALU_CYCLE_1)
	s_mov_b32 s0, exec_lo
	s_wait_storecnt 0x0
	s_wait_loadcnt_dscnt 0x0
	s_barrier_signal -1
	s_barrier_wait -1
	v_cmpx_gt_u32_e32 32, v50
	s_cbranch_execz .LBB27_122
; %bb.121:
	v_and_b32_e32 v6, 7, v7
	s_delay_alu instid0(VALU_DEP_1) | instskip(SKIP_1) | instid1(VALU_DEP_1)
	v_cmp_ne_u32_e32 vcc_lo, 7, v6
	v_add_co_ci_u32_e64 v9, null, 0, v7, vcc_lo
	v_lshlrev_b32_e32 v9, 2, v9
	v_cmp_gt_u32_e32 vcc_lo, 6, v6
	v_lshlrev_b32_e32 v8, 2, v6
	v_cndmask_b32_e64 v6, 0, 2, vcc_lo
	s_delay_alu instid0(VALU_DEP_1)
	v_add_lshl_u32 v6, v6, v7, 2
	v_lshlrev_b32_e32 v7, 2, v7
	ds_load_b32 v8, v8 offset:64
	v_or_b32_e32 v7, 16, v7
	s_wait_dscnt 0x0
	ds_bpermute_b32 v9, v9, v8
	s_wait_dscnt 0x0
	v_add_f32_e32 v8, v8, v9
	ds_bpermute_b32 v6, v6, v8
	s_wait_dscnt 0x0
	v_add_f32_e32 v6, v8, v6
	;; [unrolled: 3-line block ×3, first 2 shown]
.LBB27_122:
	s_or_b32 exec_lo, exec_lo, s0
                                        ; implicit-def: $vgpr12
	s_and_not1_saveexec_b32 s15, s13
	s_cbranch_execz .LBB27_8
.LBB27_123:
	v_mov_b64_e32 v[6:7], 0
	v_subrev_nc_u32_e32 v15, s12, v2
	s_mov_b32 s12, exec_lo
	s_delay_alu instid0(VALU_DEP_1)
	v_cmpx_lt_u32_e64 v50, v15
	s_cbranch_execz .LBB27_614
; %bb.124:
	v_dual_mov_b32 v7, 1 :: v_dual_add_nc_u32 v6, v12, v50
	s_mov_b32 s1, 0
	s_mov_b32 s13, exec_lo
	s_delay_alu instid0(VALU_DEP_1) | instskip(NEXT) | instid1(VALU_DEP_1)
	v_mul_lo_u32 v6, 0x1388, v6
	v_cmpx_ne_u32_e32 0, v6
	s_cbranch_execz .LBB27_611
; %bb.125:
	v_mov_b32_e32 v7, 0
	v_mov_b64_e32 v[10:11], 1
	s_mov_b64 s[10:11], 0xbc8f
	s_mov_b64 s[2:3], 0xfffffffd
	;; [unrolled: 1-line block ×3, first 2 shown]
	v_mov_b64_e32 v[8:9], v[6:7]
	s_mov_b64 s[8:9], 0x80000001
	s_mov_b32 s16, 0
	s_branch .LBB27_127
.LBB27_126:                             ;   in Loop: Header=BB27_127 Depth=1
	s_or_b32 exec_lo, exec_lo, s0
	s_mul_u64 s[10:11], s[10:11], s[10:11]
	s_mov_b32 s19, s1
	s_and_b64 s[20:21], s[10:11], s[2:3]
	s_mov_b32 s0, s11
	s_mul_u64 s[22:23], s[20:21], 3
	s_mul_u64 s[24:25], s[0:1], 3
	s_mov_b32 s18, s23
	s_mul_u64 s[20:21], s[20:21], s[8:9]
	s_add_nc_u64 s[18:19], s[24:25], s[18:19]
	v_lshrrev_b64 v[16:17], 1, v[8:9]
	s_and_b64 s[24:25], s[18:19], s[6:7]
	s_mov_b32 s23, s1
	s_add_nc_u64 s[20:21], s[20:21], s[24:25]
	s_mov_b32 s27, s1
	s_mov_b32 s22, s19
	;; [unrolled: 1-line block ×3, first 2 shown]
	s_mul_u64 s[20:21], s[0:1], s[8:9]
	s_add_nc_u64 s[18:19], s[22:23], s[26:27]
	v_cmp_gt_u64_e32 vcc_lo, 2, v[8:9]
	s_add_nc_u64 s[18:19], s[20:21], s[18:19]
	v_mov_b64_e32 v[8:9], v[16:17]
	s_lshr_b64 s[18:19], s[18:19], 30
	s_delay_alu instid0(SALU_CYCLE_1)
	s_mul_u64 s[18:19], s[18:19], 0x7fffffff
	s_or_b32 s16, vcc_lo, s16
	s_sub_nc_u64 s[10:11], s[10:11], s[18:19]
	s_and_not1_b32 exec_lo, exec_lo, s16
	s_cbranch_execz .LBB27_610
.LBB27_127:                             ; =>This Inner Loop Header: Depth=1
	s_delay_alu instid0(VALU_DEP_1) | instskip(SKIP_1) | instid1(VALU_DEP_1)
	v_and_b32_e32 v6, 1, v8
	s_mov_b32 s0, exec_lo
	v_cmpx_eq_u32_e32 1, v6
	s_cbranch_execz .LBB27_126
; %bb.128:                              ;   in Loop: Header=BB27_127 Depth=1
	v_mul_u64_e32 v[10:11], s[10:11], v[10:11]
	s_delay_alu instid0(VALU_DEP_1) | instskip(NEXT) | instid1(VALU_DEP_1)
	v_mov_b32_e32 v6, v10
	v_mul_u64_e32 v[16:17], 5, v[6:7]
	s_delay_alu instid0(VALU_DEP_1) | instskip(NEXT) | instid1(VALU_DEP_1)
	v_mov_b32_e32 v6, v17
	v_mad_nc_u64_u32 v[16:17], v11, 5, v[6:7]
	s_delay_alu instid0(VALU_DEP_1) | instskip(NEXT) | instid1(VALU_DEP_1)
	v_dual_mov_b32 v6, v17 :: v_dual_mov_b32 v17, v7
	v_mad_nc_u64_u32 v[16:17], v10, 2, v[16:17]
	s_delay_alu instid0(VALU_DEP_1) | instskip(NEXT) | instid1(VALU_DEP_1)
	v_dual_mov_b32 v16, v17 :: v_dual_mov_b32 v17, v7
	v_add_nc_u64_e32 v[16:17], v[6:7], v[16:17]
	s_delay_alu instid0(VALU_DEP_1) | instskip(NEXT) | instid1(VALU_DEP_1)
	v_mad_nc_u64_u32 v[16:17], v11, 2, v[16:17]
	v_sub_nc_u64_e32 v[18:19], v[10:11], v[16:17]
	s_delay_alu instid0(VALU_DEP_1) | instskip(NEXT) | instid1(VALU_DEP_1)
	v_lshrrev_b64 v[18:19], 1, v[18:19]
	v_add_nc_u64_e32 v[16:17], v[18:19], v[16:17]
	s_delay_alu instid0(VALU_DEP_1) | instskip(NEXT) | instid1(VALU_DEP_1)
	v_lshrrev_b64 v[16:17], 30, v[16:17]
	v_mul_u64_e32 v[16:17], 0x7fffffff, v[16:17]
	s_delay_alu instid0(VALU_DEP_1)
	v_sub_nc_u64_e32 v[10:11], v[10:11], v[16:17]
	s_branch .LBB27_126
.LBB27_129:
	s_or_b32 exec_lo, exec_lo, s15
	v_add_min_u32_e64 v3, 0x80000001, v12, v12
	s_delay_alu instid0(VALU_DEP_1)
	v_add_min_u32_e64 v3, 0x80000001, v3, v3
.LBB27_130:
	s_or_b32 exec_lo, exec_lo, s14
	v_mov_b32_e32 v15, 0
	s_movk_i32 s3, 0x1388
	s_brev_b32 s2, 12
.LBB27_131:                             ; =>This Inner Loop Header: Depth=1
	v_mul_hi_u32 v4, 0xbc8f1391, v3
	s_delay_alu instid0(VALU_DEP_1) | instskip(NEXT) | instid1(VALU_DEP_1)
	v_lshrrev_b32_e32 v4, 15, v4
	v_mul_u32_u24_e32 v5, 0xadc8, v4
	s_delay_alu instid0(VALU_DEP_1) | instskip(SKIP_1) | instid1(VALU_DEP_2)
	v_sub_nc_u32_e32 v3, v3, v5
	v_mul_u32_u24_e32 v4, 0xd47, v4
	v_mul_lo_u32 v3, 0xbc8f, v3
	s_delay_alu instid0(VALU_DEP_2) | instskip(SKIP_1) | instid1(VALU_DEP_3)
	v_xor_b32_e32 v5, 0x7fffffff, v4
	v_sub_nc_u32_e32 v10, 0, v4
	v_cmp_lt_u32_e32 vcc_lo, v3, v4
	s_delay_alu instid0(VALU_DEP_2) | instskip(NEXT) | instid1(VALU_DEP_1)
	v_cndmask_b32_e32 v4, v10, v5, vcc_lo
	v_add_nc_u32_e32 v3, v4, v3
	s_delay_alu instid0(VALU_DEP_1) | instskip(NEXT) | instid1(VALU_DEP_1)
	v_mul_hi_u32 v4, 0xbc8f1391, v3
	v_lshrrev_b32_e32 v4, 15, v4
	s_delay_alu instid0(VALU_DEP_1) | instskip(SKIP_1) | instid1(VALU_DEP_2)
	v_mul_u32_u24_e32 v5, 0xadc8, v4
	v_mul_u32_u24_e32 v4, 0xd47, v4
	v_sub_nc_u32_e32 v5, v3, v5
	s_delay_alu instid0(VALU_DEP_2) | instskip(SKIP_1) | instid1(VALU_DEP_3)
	v_xor_b32_e32 v10, 0x7fffffff, v4
	v_add_nc_u32_e32 v3, -1, v3
	v_mul_lo_u32 v5, 0xbc8f, v5
	v_sub_nc_u32_e32 v11, 0, v4
	s_delay_alu instid0(VALU_DEP_2) | instskip(NEXT) | instid1(VALU_DEP_2)
	v_cmp_lt_u32_e32 vcc_lo, v5, v4
	v_cndmask_b32_e32 v4, v11, v10, vcc_lo
	s_delay_alu instid0(VALU_DEP_1) | instskip(NEXT) | instid1(VALU_DEP_1)
	v_add_nc_u32_e32 v5, v4, v5
	v_mul_hi_u32 v4, 0xbc8f1391, v5
	s_delay_alu instid0(VALU_DEP_1) | instskip(NEXT) | instid1(VALU_DEP_1)
	v_lshrrev_b32_e32 v4, 15, v4
	v_mul_u32_u24_e32 v10, 0xadc8, v4
	v_mul_u32_u24_e32 v4, 0xd47, v4
	s_delay_alu instid0(VALU_DEP_2) | instskip(NEXT) | instid1(VALU_DEP_2)
	v_sub_nc_u32_e32 v10, v5, v10
	v_xor_b32_e32 v11, 0x7fffffff, v4
	s_delay_alu instid0(VALU_DEP_2) | instskip(SKIP_1) | instid1(VALU_DEP_2)
	v_mul_lo_u32 v10, 0xbc8f, v10
	v_sub_nc_u32_e32 v12, 0, v4
	v_cmp_lt_u32_e32 vcc_lo, v10, v4
	s_delay_alu instid0(VALU_DEP_2) | instskip(NEXT) | instid1(VALU_DEP_1)
	v_cndmask_b32_e32 v4, v12, v11, vcc_lo
	v_dual_add_f32 v12, 1.0, v15 :: v_dual_add_nc_u32 v10, v4, v10
	s_delay_alu instid0(VALU_DEP_1) | instskip(NEXT) | instid1(VALU_DEP_1)
	v_mul_hi_u32 v4, 0xbc8f1391, v10
	v_lshrrev_b32_e32 v4, 15, v4
	s_delay_alu instid0(VALU_DEP_1) | instskip(SKIP_2) | instid1(VALU_DEP_3)
	v_mul_u32_u24_e32 v11, 0xadc8, v4
	v_mul_u32_u24_e32 v13, 0xd47, v4
	v_cvt_f32_u32_e32 v4, v3
	v_sub_nc_u32_e32 v11, v10, v11
	s_delay_alu instid0(VALU_DEP_3) | instskip(SKIP_1) | instid1(VALU_DEP_3)
	v_xor_b32_e32 v3, 0x7fffffff, v13
	v_dual_sub_nc_u32 v17, 0, v13 :: v_dual_add_nc_u32 v10, -1, v10
	v_mul_lo_u32 v11, 0xbc8f, v11
	s_delay_alu instid0(VALU_DEP_2) | instskip(NEXT) | instid1(VALU_DEP_2)
	v_cvt_f32_u32_e32 v10, v10
	v_cmp_lt_u32_e32 vcc_lo, v11, v13
	s_delay_alu instid0(VALU_DEP_4) | instskip(NEXT) | instid1(VALU_DEP_1)
	v_dual_add_nc_u32 v5, -1, v5 :: v_dual_cndmask_b32 v3, v17, v3, vcc_lo
	v_cvt_f32_u32_e32 v5, v5
	s_delay_alu instid0(VALU_DEP_2) | instskip(NEXT) | instid1(VALU_DEP_2)
	v_add_nc_u32_e32 v3, v3, v11
	v_pk_fma_f32 v[4:5], v[4:5], s[2:3], 0 op_sel_hi:[1,0,0]
	s_delay_alu instid0(VALU_DEP_1) | instskip(NEXT) | instid1(VALU_DEP_1)
	v_pk_mul_f32 v[4:5], v[4:5], v[4:5]
	v_dual_add_nc_u32 v11, -1, v3 :: v_dual_add_f32 v13, v4, v5
	s_delay_alu instid0(VALU_DEP_1) | instskip(NEXT) | instid1(VALU_DEP_2)
	v_cvt_f32_u32_e32 v11, v11
	v_cmp_gt_f32_e32 vcc_lo, 0xf800000, v13
	s_delay_alu instid0(VALU_DEP_2) | instskip(SKIP_1) | instid1(SALU_CYCLE_1)
	v_pk_fma_f32 v[4:5], v[10:11], s[2:3], 0 op_sel_hi:[1,0,0]
	s_add_co_i32 s3, s3, -2
	s_cmp_lg_u32 s3, 0
	s_delay_alu instid0(VALU_DEP_1) | instskip(NEXT) | instid1(VALU_DEP_1)
	v_pk_mul_f32 v[4:5], v[4:5], v[4:5]
	v_add_f32_e32 v4, v4, v5
	s_delay_alu instid0(VALU_DEP_1) | instskip(NEXT) | instid1(VALU_DEP_1)
	v_dual_mul_f32 v10, 0x4f800000, v13 :: v_dual_mul_f32 v11, 0x4f800000, v4
	v_cndmask_b32_e32 v10, v13, v10, vcc_lo
	v_cmp_gt_f32_e64 s0, 0xf800000, v4
	s_delay_alu instid0(VALU_DEP_2) | instskip(SKIP_1) | instid1(TRANS32_DEP_1)
	v_sqrt_f32_e32 v5, v10
	v_nop
	v_dual_add_nc_u32 v13, -1, v5 :: v_dual_cndmask_b32 v4, v4, v11, s0
	s_delay_alu instid0(VALU_DEP_1) | instskip(NEXT) | instid1(VALU_DEP_2)
	v_dual_add_nc_u32 v11, 1, v5 :: v_dual_fma_f32 v17, -v13, v5, v10
	v_sqrt_f32_e32 v18, v4
	s_delay_alu instid0(VALU_DEP_1) | instskip(NEXT) | instid1(VALU_DEP_2)
	v_fma_f32 v19, -v11, v5, v10
	v_cmp_ge_f32_e64 s1, 0, v17
	s_delay_alu instid0(TRANS32_DEP_1) | instid1(VALU_DEP_1)
	v_dual_cndmask_b32 v5, v5, v13, s1 :: v_dual_add_nc_u32 v13, -1, v18
	s_delay_alu instid0(VALU_DEP_3) | instskip(NEXT) | instid1(VALU_DEP_2)
	v_cmp_lt_f32_e64 s1, 0, v19
	v_fma_f32 v17, -v13, v18, v4
	s_delay_alu instid0(VALU_DEP_2) | instskip(NEXT) | instid1(VALU_DEP_2)
	v_dual_cndmask_b32 v5, v5, v11, s1 :: v_dual_add_nc_u32 v11, 1, v18
	v_cmp_ge_f32_e64 s1, 0, v17
	s_delay_alu instid0(VALU_DEP_1) | instskip(NEXT) | instid1(VALU_DEP_1)
	v_dual_fma_f32 v20, -v11, v18, v4 :: v_dual_cndmask_b32 v13, v18, v13, s1
	v_cmp_lt_f32_e64 s1, 0, v20
	s_delay_alu instid0(VALU_DEP_1) | instskip(SKIP_1) | instid1(VALU_DEP_1)
	v_cndmask_b32_e64 v11, v13, v11, s1
	v_mul_f32_e32 v19, 0x37800000, v5
	v_cndmask_b32_e32 v5, v5, v19, vcc_lo
	v_cmp_class_f32_e64 vcc_lo, v10, 0x260
	s_delay_alu instid0(VALU_DEP_2) | instskip(NEXT) | instid1(VALU_DEP_1)
	v_dual_cndmask_b32 v5, v5, v10 :: v_dual_mul_f32 v10, 0x37800000, v11
	v_cmp_nge_f32_e32 vcc_lo, 1.0, v5
	s_delay_alu instid0(VALU_DEP_2) | instskip(SKIP_1) | instid1(VALU_DEP_2)
	v_dual_cndmask_b32 v10, v11, v10, s0 :: v_dual_cndmask_b32 v5, v12, v15, vcc_lo
	v_cmp_class_f32_e64 vcc_lo, v4, 0x260
	v_dual_add_f32 v11, 1.0, v5 :: v_dual_cndmask_b32 v4, v10, v4
	s_delay_alu instid0(VALU_DEP_1) | instskip(NEXT) | instid1(VALU_DEP_2)
	v_cmp_nge_f32_e32 vcc_lo, 1.0, v4
	v_cndmask_b32_e32 v15, v11, v5, vcc_lo
	s_cbranch_scc1 .LBB27_131
; %bb.132:
	v_dual_mov_b32 v3, 1 :: v_dual_add_nc_u32 v4, 0x271000, v2
	s_mov_b32 s1, 0
	s_mov_b32 s14, exec_lo
	s_delay_alu instid0(VALU_DEP_1)
	v_cmpx_ne_u32_e32 0, v4
	s_cbranch_execz .LBB27_162
; %bb.133:
	v_mov_b32_e32 v5, 0
	v_mov_b64_e32 v[12:13], 1
	s_mov_b64 s[10:11], 0xbc8f
	s_mov_b64 s[2:3], 0xfffffffd
	;; [unrolled: 1-line block ×3, first 2 shown]
	v_mov_b64_e32 v[10:11], v[4:5]
	s_mov_b64 s[8:9], 0x80000001
	s_mov_b32 s15, 0
	s_branch .LBB27_135
.LBB27_134:                             ;   in Loop: Header=BB27_135 Depth=1
	s_or_b32 exec_lo, exec_lo, s0
	s_mul_u64 s[10:11], s[10:11], s[10:11]
	s_mov_b32 s19, s1
	s_and_b64 s[20:21], s[10:11], s[2:3]
	s_mov_b32 s0, s11
	s_mul_u64 s[22:23], s[20:21], 3
	s_mul_u64 s[24:25], s[0:1], 3
	s_mov_b32 s18, s23
	s_mul_u64 s[20:21], s[20:21], s[8:9]
	s_add_nc_u64 s[18:19], s[24:25], s[18:19]
	v_lshrrev_b64 v[18:19], 1, v[10:11]
	s_and_b64 s[24:25], s[18:19], s[4:5]
	s_mov_b32 s23, s1
	s_add_nc_u64 s[20:21], s[20:21], s[24:25]
	s_mov_b32 s27, s1
	s_mov_b32 s22, s19
	;; [unrolled: 1-line block ×3, first 2 shown]
	s_mul_u64 s[20:21], s[0:1], s[8:9]
	s_add_nc_u64 s[18:19], s[22:23], s[26:27]
	v_cmp_gt_u64_e32 vcc_lo, 2, v[10:11]
	s_add_nc_u64 s[18:19], s[20:21], s[18:19]
	v_mov_b64_e32 v[10:11], v[18:19]
	s_lshr_b64 s[18:19], s[18:19], 30
	s_delay_alu instid0(SALU_CYCLE_1)
	s_mul_u64 s[18:19], s[18:19], 0x7fffffff
	s_or_b32 s15, vcc_lo, s15
	s_sub_nc_u64 s[10:11], s[10:11], s[18:19]
	s_and_not1_b32 exec_lo, exec_lo, s15
	s_cbranch_execz .LBB27_161
.LBB27_135:                             ; =>This Inner Loop Header: Depth=1
	s_delay_alu instid0(VALU_DEP_1) | instskip(SKIP_1) | instid1(VALU_DEP_1)
	v_and_b32_e32 v3, 1, v10
	s_mov_b32 s0, exec_lo
	v_cmpx_eq_u32_e32 1, v3
	s_cbranch_execz .LBB27_134
; %bb.136:                              ;   in Loop: Header=BB27_135 Depth=1
	v_mul_u64_e32 v[12:13], s[10:11], v[12:13]
	s_delay_alu instid0(VALU_DEP_1) | instskip(NEXT) | instid1(VALU_DEP_1)
	v_mov_b32_e32 v4, v12
	v_mul_u64_e32 v[18:19], 5, v[4:5]
	s_delay_alu instid0(VALU_DEP_1) | instskip(NEXT) | instid1(VALU_DEP_1)
	v_mov_b32_e32 v4, v19
	v_mad_nc_u64_u32 v[18:19], v13, 5, v[4:5]
	s_delay_alu instid0(VALU_DEP_1) | instskip(NEXT) | instid1(VALU_DEP_1)
	v_dual_mov_b32 v4, v19 :: v_dual_mov_b32 v19, v5
	v_mad_nc_u64_u32 v[18:19], v12, 2, v[18:19]
	s_delay_alu instid0(VALU_DEP_1) | instskip(NEXT) | instid1(VALU_DEP_1)
	v_dual_mov_b32 v18, v19 :: v_dual_mov_b32 v19, v5
	v_add_nc_u64_e32 v[18:19], v[4:5], v[18:19]
	s_delay_alu instid0(VALU_DEP_1) | instskip(NEXT) | instid1(VALU_DEP_1)
	v_mad_nc_u64_u32 v[18:19], v13, 2, v[18:19]
	v_sub_nc_u64_e32 v[20:21], v[12:13], v[18:19]
	s_delay_alu instid0(VALU_DEP_1) | instskip(NEXT) | instid1(VALU_DEP_1)
	v_lshrrev_b64 v[20:21], 1, v[20:21]
	v_add_nc_u64_e32 v[18:19], v[20:21], v[18:19]
	s_delay_alu instid0(VALU_DEP_1) | instskip(NEXT) | instid1(VALU_DEP_1)
	v_lshrrev_b64 v[18:19], 30, v[18:19]
	v_mul_u64_e32 v[18:19], 0x7fffffff, v[18:19]
	s_delay_alu instid0(VALU_DEP_1)
	v_sub_nc_u64_e32 v[12:13], v[12:13], v[18:19]
	s_branch .LBB27_134
.LBB27_137:
	s_or_b32 exec_lo, exec_lo, s15
	v_add_min_u32_e64 v3, 0x80000001, v8, v8
	s_delay_alu instid0(VALU_DEP_1)
	v_add_min_u32_e64 v3, 0x80000001, v3, v3
.LBB27_138:
	s_or_b32 exec_lo, exec_lo, s14
	v_mov_b32_e32 v15, 0
	s_movk_i32 s3, 0x1388
	s_brev_b32 s2, 12
.LBB27_139:                             ; =>This Inner Loop Header: Depth=1
	v_mul_hi_u32 v4, 0xbc8f1391, v3
	s_delay_alu instid0(VALU_DEP_1) | instskip(NEXT) | instid1(VALU_DEP_1)
	v_lshrrev_b32_e32 v4, 15, v4
	v_mul_u32_u24_e32 v5, 0xadc8, v4
	s_delay_alu instid0(VALU_DEP_1) | instskip(SKIP_1) | instid1(VALU_DEP_2)
	v_sub_nc_u32_e32 v3, v3, v5
	v_mul_u32_u24_e32 v4, 0xd47, v4
	v_mul_lo_u32 v3, 0xbc8f, v3
	s_delay_alu instid0(VALU_DEP_2) | instskip(SKIP_1) | instid1(VALU_DEP_3)
	v_xor_b32_e32 v5, 0x7fffffff, v4
	v_sub_nc_u32_e32 v6, 0, v4
	v_cmp_lt_u32_e32 vcc_lo, v3, v4
	s_delay_alu instid0(VALU_DEP_2) | instskip(NEXT) | instid1(VALU_DEP_1)
	v_cndmask_b32_e32 v4, v6, v5, vcc_lo
	v_add_nc_u32_e32 v3, v4, v3
	s_delay_alu instid0(VALU_DEP_1) | instskip(NEXT) | instid1(VALU_DEP_1)
	v_mul_hi_u32 v4, 0xbc8f1391, v3
	v_lshrrev_b32_e32 v4, 15, v4
	s_delay_alu instid0(VALU_DEP_1) | instskip(SKIP_1) | instid1(VALU_DEP_2)
	v_mul_u32_u24_e32 v5, 0xadc8, v4
	v_mul_u32_u24_e32 v4, 0xd47, v4
	v_sub_nc_u32_e32 v5, v3, v5
	s_delay_alu instid0(VALU_DEP_2) | instskip(SKIP_1) | instid1(VALU_DEP_3)
	v_xor_b32_e32 v6, 0x7fffffff, v4
	v_add_nc_u32_e32 v3, -1, v3
	v_mul_lo_u32 v5, 0xbc8f, v5
	v_sub_nc_u32_e32 v7, 0, v4
	s_delay_alu instid0(VALU_DEP_2) | instskip(NEXT) | instid1(VALU_DEP_2)
	v_cmp_lt_u32_e32 vcc_lo, v5, v4
	v_cndmask_b32_e32 v4, v7, v6, vcc_lo
	s_delay_alu instid0(VALU_DEP_1) | instskip(NEXT) | instid1(VALU_DEP_1)
	v_add_nc_u32_e32 v5, v4, v5
	v_mul_hi_u32 v4, 0xbc8f1391, v5
	s_delay_alu instid0(VALU_DEP_1) | instskip(NEXT) | instid1(VALU_DEP_1)
	v_lshrrev_b32_e32 v4, 15, v4
	v_mul_u32_u24_e32 v6, 0xadc8, v4
	v_mul_u32_u24_e32 v4, 0xd47, v4
	s_delay_alu instid0(VALU_DEP_2) | instskip(NEXT) | instid1(VALU_DEP_2)
	v_sub_nc_u32_e32 v6, v5, v6
	v_xor_b32_e32 v7, 0x7fffffff, v4
	s_delay_alu instid0(VALU_DEP_2) | instskip(SKIP_1) | instid1(VALU_DEP_2)
	v_mul_lo_u32 v6, 0xbc8f, v6
	v_sub_nc_u32_e32 v8, 0, v4
	v_cmp_lt_u32_e32 vcc_lo, v6, v4
	s_delay_alu instid0(VALU_DEP_2) | instskip(NEXT) | instid1(VALU_DEP_1)
	v_cndmask_b32_e32 v4, v8, v7, vcc_lo
	v_dual_add_f32 v8, 1.0, v15 :: v_dual_add_nc_u32 v6, v4, v6
	s_delay_alu instid0(VALU_DEP_1) | instskip(NEXT) | instid1(VALU_DEP_1)
	v_mul_hi_u32 v4, 0xbc8f1391, v6
	v_lshrrev_b32_e32 v4, 15, v4
	s_delay_alu instid0(VALU_DEP_1) | instskip(SKIP_2) | instid1(VALU_DEP_3)
	v_mul_u32_u24_e32 v7, 0xadc8, v4
	v_mul_u32_u24_e32 v9, 0xd47, v4
	v_cvt_f32_u32_e32 v4, v3
	v_sub_nc_u32_e32 v7, v6, v7
	s_delay_alu instid0(VALU_DEP_3) | instskip(SKIP_1) | instid1(VALU_DEP_3)
	v_xor_b32_e32 v3, 0x7fffffff, v9
	v_dual_sub_nc_u32 v16, 0, v9 :: v_dual_add_nc_u32 v6, -1, v6
	v_mul_lo_u32 v7, 0xbc8f, v7
	s_delay_alu instid0(VALU_DEP_2) | instskip(NEXT) | instid1(VALU_DEP_2)
	v_cvt_f32_u32_e32 v6, v6
	v_cmp_lt_u32_e32 vcc_lo, v7, v9
	s_delay_alu instid0(VALU_DEP_4) | instskip(NEXT) | instid1(VALU_DEP_1)
	v_dual_add_nc_u32 v5, -1, v5 :: v_dual_cndmask_b32 v3, v16, v3, vcc_lo
	v_cvt_f32_u32_e32 v5, v5
	s_delay_alu instid0(VALU_DEP_2) | instskip(NEXT) | instid1(VALU_DEP_2)
	v_add_nc_u32_e32 v3, v3, v7
	v_pk_fma_f32 v[4:5], v[4:5], s[2:3], 0 op_sel_hi:[1,0,0]
	s_delay_alu instid0(VALU_DEP_1) | instskip(NEXT) | instid1(VALU_DEP_1)
	v_pk_mul_f32 v[4:5], v[4:5], v[4:5]
	v_dual_add_nc_u32 v7, -1, v3 :: v_dual_add_f32 v9, v4, v5
	s_delay_alu instid0(VALU_DEP_1) | instskip(NEXT) | instid1(VALU_DEP_2)
	v_cvt_f32_u32_e32 v7, v7
	v_cmp_gt_f32_e32 vcc_lo, 0xf800000, v9
	s_delay_alu instid0(VALU_DEP_2) | instskip(SKIP_1) | instid1(SALU_CYCLE_1)
	v_pk_fma_f32 v[4:5], v[6:7], s[2:3], 0 op_sel_hi:[1,0,0]
	s_add_co_i32 s3, s3, -2
	s_cmp_lg_u32 s3, 0
	s_delay_alu instid0(VALU_DEP_1) | instskip(NEXT) | instid1(VALU_DEP_1)
	v_pk_mul_f32 v[4:5], v[4:5], v[4:5]
	v_add_f32_e32 v4, v4, v5
	s_delay_alu instid0(VALU_DEP_1) | instskip(NEXT) | instid1(VALU_DEP_1)
	v_dual_mul_f32 v6, 0x4f800000, v9 :: v_dual_mul_f32 v7, 0x4f800000, v4
	v_cndmask_b32_e32 v6, v9, v6, vcc_lo
	v_cmp_gt_f32_e64 s0, 0xf800000, v4
	s_delay_alu instid0(VALU_DEP_2) | instskip(SKIP_1) | instid1(TRANS32_DEP_1)
	v_sqrt_f32_e32 v5, v6
	v_nop
	v_dual_add_nc_u32 v9, -1, v5 :: v_dual_cndmask_b32 v4, v4, v7, s0
	s_delay_alu instid0(VALU_DEP_1) | instskip(NEXT) | instid1(VALU_DEP_2)
	v_dual_add_nc_u32 v7, 1, v5 :: v_dual_fma_f32 v16, -v9, v5, v6
	v_sqrt_f32_e32 v17, v4
	s_delay_alu instid0(VALU_DEP_1) | instskip(NEXT) | instid1(VALU_DEP_2)
	v_fma_f32 v18, -v7, v5, v6
	v_cmp_ge_f32_e64 s1, 0, v16
	s_delay_alu instid0(VALU_DEP_1) | instskip(NEXT) | instid1(VALU_DEP_3)
	v_cndmask_b32_e64 v5, v5, v9, s1
	v_cmp_lt_f32_e64 s1, 0, v18
	s_delay_alu instid0(TRANS32_DEP_1) | instid1(VALU_DEP_1)
	v_dual_add_nc_u32 v9, -1, v17 :: v_dual_cndmask_b32 v5, v5, v7, s1
	s_delay_alu instid0(VALU_DEP_1) | instskip(NEXT) | instid1(VALU_DEP_2)
	v_dual_add_nc_u32 v7, 1, v17 :: v_dual_fma_f32 v16, -v9, v17, v4
	v_mul_f32_e32 v18, 0x37800000, v5
	s_delay_alu instid0(VALU_DEP_2) | instskip(NEXT) | instid1(VALU_DEP_3)
	v_fma_f32 v19, -v7, v17, v4
	v_cmp_ge_f32_e64 s1, 0, v16
	s_delay_alu instid0(VALU_DEP_3) | instskip(SKIP_1) | instid1(VALU_DEP_2)
	v_cndmask_b32_e32 v5, v5, v18, vcc_lo
	v_cmp_class_f32_e64 vcc_lo, v6, 0x260
	v_cndmask_b32_e32 v5, v5, v6, vcc_lo
	s_delay_alu instid0(VALU_DEP_1) | instskip(SKIP_4) | instid1(VALU_DEP_3)
	v_cmp_nge_f32_e32 vcc_lo, 1.0, v5
	v_cndmask_b32_e64 v9, v17, v9, s1
	v_cmp_lt_f32_e64 s1, 0, v19
	v_cndmask_b32_e32 v5, v8, v15, vcc_lo
	v_cmp_class_f32_e64 vcc_lo, v4, 0x260
	v_cndmask_b32_e64 v7, v9, v7, s1
	s_delay_alu instid0(VALU_DEP_1) | instskip(NEXT) | instid1(VALU_DEP_1)
	v_mul_f32_e32 v6, 0x37800000, v7
	v_dual_cndmask_b32 v6, v7, v6, s0 :: v_dual_add_f32 v7, 1.0, v5
	s_delay_alu instid0(VALU_DEP_1) | instskip(NEXT) | instid1(VALU_DEP_1)
	v_cndmask_b32_e32 v4, v6, v4, vcc_lo
	v_cmp_nge_f32_e32 vcc_lo, 1.0, v4
	s_delay_alu instid0(VALU_DEP_3)
	v_cndmask_b32_e32 v15, v7, v5, vcc_lo
	s_cbranch_scc1 .LBB27_139
; %bb.140:
	v_dual_mov_b32 v3, 1 :: v_dual_add_nc_u32 v4, 0x271000, v2
	s_mov_b32 s1, 0
	s_mov_b32 s14, exec_lo
	s_delay_alu instid0(VALU_DEP_1)
	v_cmpx_ne_u32_e32 0, v4
	s_cbranch_execz .LBB27_170
; %bb.141:
	v_mov_b32_e32 v5, 0
	v_mov_b64_e32 v[8:9], 1
	s_mov_b64 s[8:9], 0xbc8f
	s_mov_b64 s[2:3], 0xfffffffd
	;; [unrolled: 1-line block ×3, first 2 shown]
	v_mov_b64_e32 v[6:7], v[4:5]
	s_mov_b64 s[6:7], 0x80000001
	s_mov_b32 s15, 0
	s_branch .LBB27_143
.LBB27_142:                             ;   in Loop: Header=BB27_143 Depth=1
	s_or_b32 exec_lo, exec_lo, s0
	s_mul_u64 s[8:9], s[8:9], s[8:9]
	s_mov_b32 s17, s1
	s_and_b64 s[18:19], s[8:9], s[2:3]
	s_mov_b32 s0, s9
	s_mul_u64 s[22:23], s[18:19], 3
	s_mul_u64 s[24:25], s[0:1], 3
	s_mov_b32 s16, s23
	s_mul_u64 s[18:19], s[18:19], s[6:7]
	s_add_nc_u64 s[16:17], s[24:25], s[16:17]
	v_lshrrev_b64 v[16:17], 1, v[6:7]
	s_and_b64 s[24:25], s[16:17], s[4:5]
	s_mov_b32 s23, s1
	s_add_nc_u64 s[18:19], s[18:19], s[24:25]
	s_mov_b32 s27, s1
	s_mov_b32 s22, s17
	s_mov_b32 s26, s19
	s_mul_u64 s[18:19], s[0:1], s[6:7]
	s_add_nc_u64 s[16:17], s[22:23], s[26:27]
	v_cmp_gt_u64_e32 vcc_lo, 2, v[6:7]
	s_add_nc_u64 s[16:17], s[18:19], s[16:17]
	v_mov_b64_e32 v[6:7], v[16:17]
	s_lshr_b64 s[16:17], s[16:17], 30
	s_delay_alu instid0(SALU_CYCLE_1)
	s_mul_u64 s[16:17], s[16:17], 0x7fffffff
	s_or_b32 s15, vcc_lo, s15
	s_sub_nc_u64 s[8:9], s[8:9], s[16:17]
	s_and_not1_b32 exec_lo, exec_lo, s15
	s_cbranch_execz .LBB27_169
.LBB27_143:                             ; =>This Inner Loop Header: Depth=1
	s_delay_alu instid0(VALU_DEP_1) | instskip(SKIP_1) | instid1(VALU_DEP_1)
	v_and_b32_e32 v3, 1, v6
	s_mov_b32 s0, exec_lo
	v_cmpx_eq_u32_e32 1, v3
	s_cbranch_execz .LBB27_142
; %bb.144:                              ;   in Loop: Header=BB27_143 Depth=1
	v_mul_u64_e32 v[8:9], s[8:9], v[8:9]
	s_delay_alu instid0(VALU_DEP_1) | instskip(NEXT) | instid1(VALU_DEP_1)
	v_mov_b32_e32 v4, v8
	v_mul_u64_e32 v[16:17], 5, v[4:5]
	s_delay_alu instid0(VALU_DEP_1) | instskip(NEXT) | instid1(VALU_DEP_1)
	v_mov_b32_e32 v4, v17
	v_mad_nc_u64_u32 v[16:17], v9, 5, v[4:5]
	s_delay_alu instid0(VALU_DEP_1) | instskip(NEXT) | instid1(VALU_DEP_1)
	v_dual_mov_b32 v4, v17 :: v_dual_mov_b32 v17, v5
	v_mad_nc_u64_u32 v[16:17], v8, 2, v[16:17]
	s_delay_alu instid0(VALU_DEP_1) | instskip(NEXT) | instid1(VALU_DEP_1)
	v_dual_mov_b32 v16, v17 :: v_dual_mov_b32 v17, v5
	v_add_nc_u64_e32 v[16:17], v[4:5], v[16:17]
	s_delay_alu instid0(VALU_DEP_1) | instskip(NEXT) | instid1(VALU_DEP_1)
	v_mad_nc_u64_u32 v[16:17], v9, 2, v[16:17]
	v_sub_nc_u64_e32 v[18:19], v[8:9], v[16:17]
	s_delay_alu instid0(VALU_DEP_1) | instskip(NEXT) | instid1(VALU_DEP_1)
	v_lshrrev_b64 v[18:19], 1, v[18:19]
	v_add_nc_u64_e32 v[16:17], v[18:19], v[16:17]
	s_delay_alu instid0(VALU_DEP_1) | instskip(NEXT) | instid1(VALU_DEP_1)
	v_lshrrev_b64 v[16:17], 30, v[16:17]
	v_mul_u64_e32 v[16:17], 0x7fffffff, v[16:17]
	s_delay_alu instid0(VALU_DEP_1)
	v_sub_nc_u64_e32 v[8:9], v[8:9], v[16:17]
	s_branch .LBB27_142
.LBB27_145:
	s_or_b32 exec_lo, exec_lo, s13
	v_add_min_u32_e64 v3, 0x80000001, v8, v8
	s_delay_alu instid0(VALU_DEP_1)
	v_add_min_u32_e64 v3, 0x80000001, v3, v3
.LBB27_146:
	s_or_b32 exec_lo, exec_lo, s12
	v_mov_b32_e32 v11, 0
	s_movk_i32 s3, 0x1388
	s_brev_b32 s2, 12
.LBB27_147:                             ; =>This Inner Loop Header: Depth=1
	v_mul_hi_u32 v4, 0xbc8f1391, v3
	s_delay_alu instid0(VALU_DEP_1) | instskip(NEXT) | instid1(VALU_DEP_1)
	v_lshrrev_b32_e32 v4, 15, v4
	v_mul_u32_u24_e32 v5, 0xadc8, v4
	s_delay_alu instid0(VALU_DEP_1) | instskip(SKIP_1) | instid1(VALU_DEP_2)
	v_sub_nc_u32_e32 v3, v3, v5
	v_mul_u32_u24_e32 v4, 0xd47, v4
	v_mul_lo_u32 v3, 0xbc8f, v3
	s_delay_alu instid0(VALU_DEP_2) | instskip(SKIP_1) | instid1(VALU_DEP_3)
	v_xor_b32_e32 v5, 0x7fffffff, v4
	v_sub_nc_u32_e32 v6, 0, v4
	v_cmp_lt_u32_e32 vcc_lo, v3, v4
	s_delay_alu instid0(VALU_DEP_2) | instskip(NEXT) | instid1(VALU_DEP_1)
	v_cndmask_b32_e32 v4, v6, v5, vcc_lo
	v_add_nc_u32_e32 v3, v4, v3
	s_delay_alu instid0(VALU_DEP_1) | instskip(NEXT) | instid1(VALU_DEP_1)
	v_mul_hi_u32 v4, 0xbc8f1391, v3
	v_lshrrev_b32_e32 v4, 15, v4
	s_delay_alu instid0(VALU_DEP_1) | instskip(SKIP_1) | instid1(VALU_DEP_2)
	v_mul_u32_u24_e32 v5, 0xadc8, v4
	v_mul_u32_u24_e32 v4, 0xd47, v4
	v_sub_nc_u32_e32 v5, v3, v5
	s_delay_alu instid0(VALU_DEP_2) | instskip(SKIP_1) | instid1(VALU_DEP_3)
	v_xor_b32_e32 v6, 0x7fffffff, v4
	v_add_nc_u32_e32 v3, -1, v3
	v_mul_lo_u32 v5, 0xbc8f, v5
	v_sub_nc_u32_e32 v7, 0, v4
	s_delay_alu instid0(VALU_DEP_2) | instskip(NEXT) | instid1(VALU_DEP_2)
	v_cmp_lt_u32_e32 vcc_lo, v5, v4
	v_cndmask_b32_e32 v4, v7, v6, vcc_lo
	s_delay_alu instid0(VALU_DEP_1) | instskip(NEXT) | instid1(VALU_DEP_1)
	v_add_nc_u32_e32 v5, v4, v5
	v_mul_hi_u32 v4, 0xbc8f1391, v5
	s_delay_alu instid0(VALU_DEP_1) | instskip(NEXT) | instid1(VALU_DEP_1)
	v_lshrrev_b32_e32 v4, 15, v4
	v_mul_u32_u24_e32 v6, 0xadc8, v4
	v_mul_u32_u24_e32 v4, 0xd47, v4
	s_delay_alu instid0(VALU_DEP_2) | instskip(NEXT) | instid1(VALU_DEP_2)
	v_sub_nc_u32_e32 v6, v5, v6
	v_xor_b32_e32 v7, 0x7fffffff, v4
	s_delay_alu instid0(VALU_DEP_2) | instskip(SKIP_1) | instid1(VALU_DEP_2)
	v_mul_lo_u32 v6, 0xbc8f, v6
	v_sub_nc_u32_e32 v8, 0, v4
	v_cmp_lt_u32_e32 vcc_lo, v6, v4
	s_delay_alu instid0(VALU_DEP_2) | instskip(NEXT) | instid1(VALU_DEP_1)
	v_cndmask_b32_e32 v4, v8, v7, vcc_lo
	v_dual_add_f32 v8, 1.0, v11 :: v_dual_add_nc_u32 v6, v4, v6
	s_delay_alu instid0(VALU_DEP_1) | instskip(NEXT) | instid1(VALU_DEP_1)
	v_mul_hi_u32 v4, 0xbc8f1391, v6
	v_lshrrev_b32_e32 v4, 15, v4
	s_delay_alu instid0(VALU_DEP_1) | instskip(SKIP_2) | instid1(VALU_DEP_3)
	v_mul_u32_u24_e32 v7, 0xadc8, v4
	v_mul_u32_u24_e32 v9, 0xd47, v4
	v_cvt_f32_u32_e32 v4, v3
	v_sub_nc_u32_e32 v7, v6, v7
	s_delay_alu instid0(VALU_DEP_3) | instskip(SKIP_1) | instid1(VALU_DEP_3)
	v_xor_b32_e32 v3, 0x7fffffff, v9
	v_dual_sub_nc_u32 v12, 0, v9 :: v_dual_add_nc_u32 v6, -1, v6
	v_mul_lo_u32 v7, 0xbc8f, v7
	s_delay_alu instid0(VALU_DEP_2) | instskip(NEXT) | instid1(VALU_DEP_2)
	v_cvt_f32_u32_e32 v6, v6
	v_cmp_lt_u32_e32 vcc_lo, v7, v9
	s_delay_alu instid0(VALU_DEP_4) | instskip(NEXT) | instid1(VALU_DEP_1)
	v_dual_add_nc_u32 v5, -1, v5 :: v_dual_cndmask_b32 v3, v12, v3, vcc_lo
	v_cvt_f32_u32_e32 v5, v5
	s_delay_alu instid0(VALU_DEP_2) | instskip(NEXT) | instid1(VALU_DEP_2)
	v_add_nc_u32_e32 v3, v3, v7
	v_pk_fma_f32 v[4:5], v[4:5], s[2:3], 0 op_sel_hi:[1,0,0]
	s_delay_alu instid0(VALU_DEP_1) | instskip(NEXT) | instid1(VALU_DEP_1)
	v_pk_mul_f32 v[4:5], v[4:5], v[4:5]
	v_dual_add_nc_u32 v7, -1, v3 :: v_dual_add_f32 v9, v4, v5
	s_delay_alu instid0(VALU_DEP_1) | instskip(NEXT) | instid1(VALU_DEP_2)
	v_cvt_f32_u32_e32 v7, v7
	v_cmp_gt_f32_e32 vcc_lo, 0xf800000, v9
	s_delay_alu instid0(VALU_DEP_2) | instskip(SKIP_1) | instid1(SALU_CYCLE_1)
	v_pk_fma_f32 v[4:5], v[6:7], s[2:3], 0 op_sel_hi:[1,0,0]
	s_add_co_i32 s3, s3, -2
	s_cmp_lg_u32 s3, 0
	s_delay_alu instid0(VALU_DEP_1) | instskip(NEXT) | instid1(VALU_DEP_1)
	v_pk_mul_f32 v[4:5], v[4:5], v[4:5]
	v_add_f32_e32 v4, v4, v5
	s_delay_alu instid0(VALU_DEP_1) | instskip(NEXT) | instid1(VALU_DEP_1)
	v_dual_mul_f32 v6, 0x4f800000, v9 :: v_dual_mul_f32 v7, 0x4f800000, v4
	v_cndmask_b32_e32 v6, v9, v6, vcc_lo
	v_cmp_gt_f32_e64 s0, 0xf800000, v4
	s_delay_alu instid0(VALU_DEP_2) | instskip(SKIP_1) | instid1(TRANS32_DEP_1)
	v_sqrt_f32_e32 v5, v6
	v_nop
	v_dual_add_nc_u32 v9, -1, v5 :: v_dual_cndmask_b32 v4, v4, v7, s0
	s_delay_alu instid0(VALU_DEP_1) | instskip(NEXT) | instid1(VALU_DEP_2)
	v_dual_add_nc_u32 v7, 1, v5 :: v_dual_fma_f32 v12, -v9, v5, v6
	v_sqrt_f32_e32 v13, v4
	s_delay_alu instid0(VALU_DEP_1) | instskip(NEXT) | instid1(VALU_DEP_2)
	v_fma_f32 v14, -v7, v5, v6
	v_cmp_ge_f32_e64 s1, 0, v12
	s_delay_alu instid0(VALU_DEP_1) | instskip(NEXT) | instid1(VALU_DEP_3)
	v_cndmask_b32_e64 v5, v5, v9, s1
	v_cmp_lt_f32_e64 s1, 0, v14
	s_delay_alu instid0(TRANS32_DEP_1) | instid1(VALU_DEP_1)
	v_dual_add_nc_u32 v9, -1, v13 :: v_dual_cndmask_b32 v5, v5, v7, s1
	s_delay_alu instid0(VALU_DEP_1) | instskip(NEXT) | instid1(VALU_DEP_2)
	v_dual_add_nc_u32 v7, 1, v13 :: v_dual_fma_f32 v12, -v9, v13, v4
	v_mul_f32_e32 v14, 0x37800000, v5
	s_delay_alu instid0(VALU_DEP_2) | instskip(NEXT) | instid1(VALU_DEP_3)
	v_fma_f32 v15, -v7, v13, v4
	v_cmp_ge_f32_e64 s1, 0, v12
	s_delay_alu instid0(VALU_DEP_3) | instskip(SKIP_1) | instid1(VALU_DEP_2)
	v_cndmask_b32_e32 v5, v5, v14, vcc_lo
	v_cmp_class_f32_e64 vcc_lo, v6, 0x260
	v_cndmask_b32_e32 v5, v5, v6, vcc_lo
	s_delay_alu instid0(VALU_DEP_1) | instskip(SKIP_4) | instid1(VALU_DEP_3)
	v_cmp_nge_f32_e32 vcc_lo, 1.0, v5
	v_cndmask_b32_e64 v9, v13, v9, s1
	v_cmp_lt_f32_e64 s1, 0, v15
	v_cndmask_b32_e32 v5, v8, v11, vcc_lo
	v_cmp_class_f32_e64 vcc_lo, v4, 0x260
	v_cndmask_b32_e64 v7, v9, v7, s1
	s_delay_alu instid0(VALU_DEP_1) | instskip(NEXT) | instid1(VALU_DEP_1)
	v_mul_f32_e32 v6, 0x37800000, v7
	v_dual_cndmask_b32 v6, v7, v6, s0 :: v_dual_add_f32 v7, 1.0, v5
	s_delay_alu instid0(VALU_DEP_1) | instskip(NEXT) | instid1(VALU_DEP_1)
	v_cndmask_b32_e32 v4, v6, v4, vcc_lo
	v_cmp_nge_f32_e32 vcc_lo, 1.0, v4
	s_delay_alu instid0(VALU_DEP_3)
	v_cndmask_b32_e32 v11, v7, v5, vcc_lo
	s_cbranch_scc1 .LBB27_147
; %bb.148:
	v_dual_mov_b32 v3, 1 :: v_dual_add_nc_u32 v4, 0x271000, v2
	s_mov_b32 s1, 0
	s_mov_b32 s12, exec_lo
	s_delay_alu instid0(VALU_DEP_1)
	v_cmpx_ne_u32_e32 0, v4
	s_cbranch_execz .LBB27_178
; %bb.149:
	v_mov_b32_e32 v5, 0
	v_mov_b64_e32 v[8:9], 1
	s_mov_b64 s[8:9], 0xbc8f
	s_mov_b64 s[2:3], 0xfffffffd
	;; [unrolled: 1-line block ×3, first 2 shown]
	v_mov_b64_e32 v[6:7], v[4:5]
	s_mov_b64 s[6:7], 0x80000001
	s_mov_b32 s13, 0
	s_branch .LBB27_151
.LBB27_150:                             ;   in Loop: Header=BB27_151 Depth=1
	s_or_b32 exec_lo, exec_lo, s0
	s_mul_u64 s[8:9], s[8:9], s[8:9]
	s_mov_b32 s15, s1
	s_and_b64 s[16:17], s[8:9], s[2:3]
	s_mov_b32 s0, s9
	s_mul_u64 s[20:21], s[16:17], 3
	s_mul_u64 s[22:23], s[0:1], 3
	s_mov_b32 s14, s21
	s_mul_u64 s[16:17], s[16:17], s[6:7]
	s_add_nc_u64 s[14:15], s[22:23], s[14:15]
	v_lshrrev_b64 v[12:13], 1, v[6:7]
	s_and_b64 s[22:23], s[14:15], s[4:5]
	s_mov_b32 s21, s1
	s_add_nc_u64 s[16:17], s[16:17], s[22:23]
	s_mov_b32 s25, s1
	s_mov_b32 s20, s15
	;; [unrolled: 1-line block ×3, first 2 shown]
	s_mul_u64 s[16:17], s[0:1], s[6:7]
	s_add_nc_u64 s[14:15], s[20:21], s[24:25]
	v_cmp_gt_u64_e32 vcc_lo, 2, v[6:7]
	s_add_nc_u64 s[14:15], s[16:17], s[14:15]
	v_mov_b64_e32 v[6:7], v[12:13]
	s_lshr_b64 s[14:15], s[14:15], 30
	s_delay_alu instid0(SALU_CYCLE_1)
	s_mul_u64 s[14:15], s[14:15], 0x7fffffff
	s_or_b32 s13, vcc_lo, s13
	s_sub_nc_u64 s[8:9], s[8:9], s[14:15]
	s_and_not1_b32 exec_lo, exec_lo, s13
	s_cbranch_execz .LBB27_177
.LBB27_151:                             ; =>This Inner Loop Header: Depth=1
	s_delay_alu instid0(VALU_DEP_1) | instskip(SKIP_1) | instid1(VALU_DEP_1)
	v_and_b32_e32 v3, 1, v6
	s_mov_b32 s0, exec_lo
	v_cmpx_eq_u32_e32 1, v3
	s_cbranch_execz .LBB27_150
; %bb.152:                              ;   in Loop: Header=BB27_151 Depth=1
	v_mul_u64_e32 v[8:9], s[8:9], v[8:9]
	s_delay_alu instid0(VALU_DEP_1) | instskip(NEXT) | instid1(VALU_DEP_1)
	v_mov_b32_e32 v4, v8
	v_mul_u64_e32 v[12:13], 5, v[4:5]
	s_delay_alu instid0(VALU_DEP_1) | instskip(NEXT) | instid1(VALU_DEP_1)
	v_mov_b32_e32 v4, v13
	v_mad_nc_u64_u32 v[12:13], v9, 5, v[4:5]
	s_delay_alu instid0(VALU_DEP_1) | instskip(NEXT) | instid1(VALU_DEP_1)
	v_dual_mov_b32 v4, v13 :: v_dual_mov_b32 v13, v5
	v_mad_nc_u64_u32 v[12:13], v8, 2, v[12:13]
	s_delay_alu instid0(VALU_DEP_1) | instskip(NEXT) | instid1(VALU_DEP_1)
	v_dual_mov_b32 v12, v13 :: v_dual_mov_b32 v13, v5
	v_add_nc_u64_e32 v[12:13], v[4:5], v[12:13]
	s_delay_alu instid0(VALU_DEP_1) | instskip(NEXT) | instid1(VALU_DEP_1)
	v_mad_nc_u64_u32 v[12:13], v9, 2, v[12:13]
	v_sub_nc_u64_e32 v[14:15], v[8:9], v[12:13]
	s_delay_alu instid0(VALU_DEP_1) | instskip(NEXT) | instid1(VALU_DEP_1)
	v_lshrrev_b64 v[14:15], 1, v[14:15]
	v_add_nc_u64_e32 v[12:13], v[14:15], v[12:13]
	s_delay_alu instid0(VALU_DEP_1) | instskip(NEXT) | instid1(VALU_DEP_1)
	v_lshrrev_b64 v[12:13], 30, v[12:13]
	v_mul_u64_e32 v[12:13], 0x7fffffff, v[12:13]
	s_delay_alu instid0(VALU_DEP_1)
	v_sub_nc_u64_e32 v[8:9], v[8:9], v[12:13]
	s_branch .LBB27_150
.LBB27_153:
	s_or_b32 exec_lo, exec_lo, s13
	v_add_min_u32_e64 v1, 0x80000001, v6, v6
	s_delay_alu instid0(VALU_DEP_1)
	v_add_min_u32_e64 v1, 0x80000001, v1, v1
.LBB27_154:
	s_or_b32 exec_lo, exec_lo, s12
	v_mov_b32_e32 v9, 0
	s_movk_i32 s3, 0x1388
	s_brev_b32 s2, 12
.LBB27_155:                             ; =>This Inner Loop Header: Depth=1
	v_mul_hi_u32 v2, 0xbc8f1391, v1
	s_delay_alu instid0(VALU_DEP_1) | instskip(NEXT) | instid1(VALU_DEP_1)
	v_lshrrev_b32_e32 v2, 15, v2
	v_mul_u32_u24_e32 v3, 0xadc8, v2
	s_delay_alu instid0(VALU_DEP_1) | instskip(SKIP_1) | instid1(VALU_DEP_2)
	v_sub_nc_u32_e32 v1, v1, v3
	v_mul_u32_u24_e32 v2, 0xd47, v2
	v_mul_lo_u32 v1, 0xbc8f, v1
	s_delay_alu instid0(VALU_DEP_2) | instskip(SKIP_1) | instid1(VALU_DEP_3)
	v_xor_b32_e32 v3, 0x7fffffff, v2
	v_sub_nc_u32_e32 v4, 0, v2
	v_cmp_lt_u32_e32 vcc_lo, v1, v2
	s_delay_alu instid0(VALU_DEP_2) | instskip(NEXT) | instid1(VALU_DEP_1)
	v_cndmask_b32_e32 v2, v4, v3, vcc_lo
	v_add_nc_u32_e32 v1, v2, v1
	s_delay_alu instid0(VALU_DEP_1) | instskip(NEXT) | instid1(VALU_DEP_1)
	v_mul_hi_u32 v2, 0xbc8f1391, v1
	v_lshrrev_b32_e32 v2, 15, v2
	s_delay_alu instid0(VALU_DEP_1) | instskip(SKIP_1) | instid1(VALU_DEP_2)
	v_mul_u32_u24_e32 v3, 0xadc8, v2
	v_mul_u32_u24_e32 v2, 0xd47, v2
	v_sub_nc_u32_e32 v3, v1, v3
	s_delay_alu instid0(VALU_DEP_2) | instskip(SKIP_1) | instid1(VALU_DEP_3)
	v_xor_b32_e32 v4, 0x7fffffff, v2
	v_add_nc_u32_e32 v1, -1, v1
	v_mul_lo_u32 v3, 0xbc8f, v3
	v_sub_nc_u32_e32 v5, 0, v2
	s_delay_alu instid0(VALU_DEP_2) | instskip(NEXT) | instid1(VALU_DEP_2)
	v_cmp_lt_u32_e32 vcc_lo, v3, v2
	v_cndmask_b32_e32 v2, v5, v4, vcc_lo
	s_delay_alu instid0(VALU_DEP_1) | instskip(NEXT) | instid1(VALU_DEP_1)
	v_add_nc_u32_e32 v3, v2, v3
	v_mul_hi_u32 v2, 0xbc8f1391, v3
	s_delay_alu instid0(VALU_DEP_1) | instskip(NEXT) | instid1(VALU_DEP_1)
	v_lshrrev_b32_e32 v2, 15, v2
	v_mul_u32_u24_e32 v4, 0xadc8, v2
	v_mul_u32_u24_e32 v2, 0xd47, v2
	s_delay_alu instid0(VALU_DEP_2) | instskip(NEXT) | instid1(VALU_DEP_2)
	v_sub_nc_u32_e32 v4, v3, v4
	v_xor_b32_e32 v5, 0x7fffffff, v2
	s_delay_alu instid0(VALU_DEP_2) | instskip(SKIP_1) | instid1(VALU_DEP_2)
	v_mul_lo_u32 v4, 0xbc8f, v4
	v_sub_nc_u32_e32 v6, 0, v2
	v_cmp_lt_u32_e32 vcc_lo, v4, v2
	s_delay_alu instid0(VALU_DEP_2) | instskip(NEXT) | instid1(VALU_DEP_1)
	v_cndmask_b32_e32 v2, v6, v5, vcc_lo
	v_dual_add_f32 v6, 1.0, v9 :: v_dual_add_nc_u32 v4, v2, v4
	s_delay_alu instid0(VALU_DEP_1) | instskip(NEXT) | instid1(VALU_DEP_1)
	v_mul_hi_u32 v2, 0xbc8f1391, v4
	v_lshrrev_b32_e32 v2, 15, v2
	s_delay_alu instid0(VALU_DEP_1) | instskip(SKIP_2) | instid1(VALU_DEP_3)
	v_mul_u32_u24_e32 v5, 0xadc8, v2
	v_mul_u32_u24_e32 v7, 0xd47, v2
	v_cvt_f32_u32_e32 v2, v1
	v_sub_nc_u32_e32 v5, v4, v5
	s_delay_alu instid0(VALU_DEP_3) | instskip(SKIP_1) | instid1(VALU_DEP_3)
	v_xor_b32_e32 v1, 0x7fffffff, v7
	v_dual_sub_nc_u32 v10, 0, v7 :: v_dual_add_nc_u32 v4, -1, v4
	v_mul_lo_u32 v5, 0xbc8f, v5
	s_delay_alu instid0(VALU_DEP_2) | instskip(NEXT) | instid1(VALU_DEP_2)
	v_cvt_f32_u32_e32 v4, v4
	v_cmp_lt_u32_e32 vcc_lo, v5, v7
	s_delay_alu instid0(VALU_DEP_4) | instskip(NEXT) | instid1(VALU_DEP_1)
	v_dual_add_nc_u32 v3, -1, v3 :: v_dual_cndmask_b32 v1, v10, v1, vcc_lo
	v_cvt_f32_u32_e32 v3, v3
	s_delay_alu instid0(VALU_DEP_2) | instskip(NEXT) | instid1(VALU_DEP_2)
	v_add_nc_u32_e32 v1, v1, v5
	v_pk_fma_f32 v[2:3], v[2:3], s[2:3], 0 op_sel_hi:[1,0,0]
	s_delay_alu instid0(VALU_DEP_1) | instskip(NEXT) | instid1(VALU_DEP_1)
	v_pk_mul_f32 v[2:3], v[2:3], v[2:3]
	v_dual_add_nc_u32 v5, -1, v1 :: v_dual_add_f32 v7, v2, v3
	s_delay_alu instid0(VALU_DEP_1) | instskip(NEXT) | instid1(VALU_DEP_2)
	v_cvt_f32_u32_e32 v5, v5
	v_cmp_gt_f32_e32 vcc_lo, 0xf800000, v7
	s_delay_alu instid0(VALU_DEP_2) | instskip(SKIP_1) | instid1(SALU_CYCLE_1)
	v_pk_fma_f32 v[2:3], v[4:5], s[2:3], 0 op_sel_hi:[1,0,0]
	s_add_co_i32 s3, s3, -2
	s_cmp_lg_u32 s3, 0
	s_delay_alu instid0(VALU_DEP_1) | instskip(NEXT) | instid1(VALU_DEP_1)
	v_pk_mul_f32 v[2:3], v[2:3], v[2:3]
	v_add_f32_e32 v2, v2, v3
	s_delay_alu instid0(VALU_DEP_1) | instskip(NEXT) | instid1(VALU_DEP_1)
	v_dual_mul_f32 v4, 0x4f800000, v7 :: v_dual_mul_f32 v5, 0x4f800000, v2
	v_cndmask_b32_e32 v4, v7, v4, vcc_lo
	v_cmp_gt_f32_e64 s0, 0xf800000, v2
	s_delay_alu instid0(VALU_DEP_2) | instskip(SKIP_1) | instid1(TRANS32_DEP_1)
	v_sqrt_f32_e32 v3, v4
	v_nop
	v_dual_add_nc_u32 v7, -1, v3 :: v_dual_cndmask_b32 v2, v2, v5, s0
	s_delay_alu instid0(VALU_DEP_1) | instskip(NEXT) | instid1(VALU_DEP_2)
	v_dual_add_nc_u32 v5, 1, v3 :: v_dual_fma_f32 v10, -v7, v3, v4
	v_sqrt_f32_e32 v11, v2
	s_delay_alu instid0(VALU_DEP_1) | instskip(NEXT) | instid1(VALU_DEP_2)
	v_fma_f32 v12, -v5, v3, v4
	v_cmp_ge_f32_e64 s1, 0, v10
	s_delay_alu instid0(VALU_DEP_1) | instskip(NEXT) | instid1(VALU_DEP_3)
	v_cndmask_b32_e64 v3, v3, v7, s1
	v_cmp_lt_f32_e64 s1, 0, v12
	s_delay_alu instid0(TRANS32_DEP_1) | instid1(VALU_DEP_1)
	v_dual_add_nc_u32 v7, -1, v11 :: v_dual_cndmask_b32 v3, v3, v5, s1
	s_delay_alu instid0(VALU_DEP_1) | instskip(NEXT) | instid1(VALU_DEP_2)
	v_dual_add_nc_u32 v5, 1, v11 :: v_dual_fma_f32 v10, -v7, v11, v2
	v_mul_f32_e32 v12, 0x37800000, v3
	s_delay_alu instid0(VALU_DEP_2) | instskip(NEXT) | instid1(VALU_DEP_3)
	v_fma_f32 v13, -v5, v11, v2
	v_cmp_ge_f32_e64 s1, 0, v10
	s_delay_alu instid0(VALU_DEP_3) | instskip(SKIP_1) | instid1(VALU_DEP_2)
	v_cndmask_b32_e32 v3, v3, v12, vcc_lo
	v_cmp_class_f32_e64 vcc_lo, v4, 0x260
	v_cndmask_b32_e32 v3, v3, v4, vcc_lo
	s_delay_alu instid0(VALU_DEP_1) | instskip(SKIP_4) | instid1(VALU_DEP_3)
	v_cmp_nge_f32_e32 vcc_lo, 1.0, v3
	v_cndmask_b32_e64 v7, v11, v7, s1
	v_cmp_lt_f32_e64 s1, 0, v13
	v_cndmask_b32_e32 v3, v6, v9, vcc_lo
	v_cmp_class_f32_e64 vcc_lo, v2, 0x260
	v_cndmask_b32_e64 v5, v7, v5, s1
	s_delay_alu instid0(VALU_DEP_1) | instskip(NEXT) | instid1(VALU_DEP_1)
	v_mul_f32_e32 v4, 0x37800000, v5
	v_dual_cndmask_b32 v4, v5, v4, s0 :: v_dual_add_f32 v5, 1.0, v3
	s_delay_alu instid0(VALU_DEP_1) | instskip(NEXT) | instid1(VALU_DEP_1)
	v_cndmask_b32_e32 v2, v4, v2, vcc_lo
	v_cmp_nge_f32_e32 vcc_lo, 1.0, v2
	s_delay_alu instid0(VALU_DEP_3)
	v_cndmask_b32_e32 v9, v5, v3, vcc_lo
	s_cbranch_scc1 .LBB27_155
; %bb.156:
	v_dual_mov_b32 v1, 1 :: v_dual_add_nc_u32 v2, 0x271000, v0
	s_mov_b32 s1, 0
	s_mov_b32 s12, exec_lo
	s_delay_alu instid0(VALU_DEP_1)
	v_cmpx_ne_u32_e32 0, v2
	s_cbranch_execz .LBB27_186
; %bb.157:
	v_mov_b32_e32 v3, 0
	v_mov_b64_e32 v[6:7], 1
	s_mov_b64 s[8:9], 0xbc8f
	s_mov_b64 s[2:3], 0xfffffffd
	;; [unrolled: 1-line block ×3, first 2 shown]
	v_mov_b64_e32 v[4:5], v[2:3]
	s_mov_b64 s[6:7], 0x80000001
	s_mov_b32 s13, 0
	s_branch .LBB27_159
.LBB27_158:                             ;   in Loop: Header=BB27_159 Depth=1
	s_or_b32 exec_lo, exec_lo, s0
	s_mul_u64 s[8:9], s[8:9], s[8:9]
	s_mov_b32 s15, s1
	s_and_b64 s[16:17], s[8:9], s[2:3]
	s_mov_b32 s0, s9
	s_mul_u64 s[18:19], s[16:17], 3
	s_mul_u64 s[20:21], s[0:1], 3
	s_mov_b32 s14, s19
	s_mul_u64 s[16:17], s[16:17], s[6:7]
	s_add_nc_u64 s[14:15], s[20:21], s[14:15]
	v_lshrrev_b64 v[10:11], 1, v[4:5]
	s_and_b64 s[20:21], s[14:15], s[4:5]
	s_mov_b32 s19, s1
	s_add_nc_u64 s[16:17], s[16:17], s[20:21]
	s_mov_b32 s23, s1
	s_mov_b32 s18, s15
	;; [unrolled: 1-line block ×3, first 2 shown]
	s_mul_u64 s[16:17], s[0:1], s[6:7]
	s_add_nc_u64 s[14:15], s[18:19], s[22:23]
	v_cmp_gt_u64_e32 vcc_lo, 2, v[4:5]
	s_add_nc_u64 s[14:15], s[16:17], s[14:15]
	v_mov_b64_e32 v[4:5], v[10:11]
	s_lshr_b64 s[14:15], s[14:15], 30
	s_delay_alu instid0(SALU_CYCLE_1)
	s_mul_u64 s[14:15], s[14:15], 0x7fffffff
	s_or_b32 s13, vcc_lo, s13
	s_sub_nc_u64 s[8:9], s[8:9], s[14:15]
	s_and_not1_b32 exec_lo, exec_lo, s13
	s_cbranch_execz .LBB27_185
.LBB27_159:                             ; =>This Inner Loop Header: Depth=1
	s_delay_alu instid0(VALU_DEP_1) | instskip(SKIP_1) | instid1(VALU_DEP_1)
	v_and_b32_e32 v1, 1, v4
	s_mov_b32 s0, exec_lo
	v_cmpx_eq_u32_e32 1, v1
	s_cbranch_execz .LBB27_158
; %bb.160:                              ;   in Loop: Header=BB27_159 Depth=1
	v_mul_u64_e32 v[6:7], s[8:9], v[6:7]
	s_delay_alu instid0(VALU_DEP_1) | instskip(NEXT) | instid1(VALU_DEP_1)
	v_mov_b32_e32 v2, v6
	v_mul_u64_e32 v[10:11], 5, v[2:3]
	s_delay_alu instid0(VALU_DEP_1) | instskip(NEXT) | instid1(VALU_DEP_1)
	v_mov_b32_e32 v2, v11
	v_mad_nc_u64_u32 v[10:11], v7, 5, v[2:3]
	s_delay_alu instid0(VALU_DEP_1) | instskip(NEXT) | instid1(VALU_DEP_1)
	v_dual_mov_b32 v2, v11 :: v_dual_mov_b32 v11, v3
	v_mad_nc_u64_u32 v[10:11], v6, 2, v[10:11]
	s_delay_alu instid0(VALU_DEP_1) | instskip(NEXT) | instid1(VALU_DEP_1)
	v_dual_mov_b32 v10, v11 :: v_dual_mov_b32 v11, v3
	v_add_nc_u64_e32 v[10:11], v[2:3], v[10:11]
	s_delay_alu instid0(VALU_DEP_1) | instskip(NEXT) | instid1(VALU_DEP_1)
	v_mad_nc_u64_u32 v[10:11], v7, 2, v[10:11]
	v_sub_nc_u64_e32 v[12:13], v[6:7], v[10:11]
	s_delay_alu instid0(VALU_DEP_1) | instskip(NEXT) | instid1(VALU_DEP_1)
	v_lshrrev_b64 v[12:13], 1, v[12:13]
	v_add_nc_u64_e32 v[10:11], v[12:13], v[10:11]
	s_delay_alu instid0(VALU_DEP_1) | instskip(NEXT) | instid1(VALU_DEP_1)
	v_lshrrev_b64 v[10:11], 30, v[10:11]
	v_mul_u64_e32 v[10:11], 0x7fffffff, v[10:11]
	s_delay_alu instid0(VALU_DEP_1)
	v_sub_nc_u64_e32 v[6:7], v[6:7], v[10:11]
	s_branch .LBB27_158
.LBB27_161:
	s_or_b32 exec_lo, exec_lo, s15
	v_add_min_u32_e64 v3, 0x80000001, v12, v12
	s_delay_alu instid0(VALU_DEP_1)
	v_add_min_u32_e64 v3, 0x80000001, v3, v3
.LBB27_162:
	s_or_b32 exec_lo, exec_lo, s14
	v_mov_b32_e32 v12, 0
	s_movk_i32 s3, 0x1388
	s_brev_b32 s2, 12
.LBB27_163:                             ; =>This Inner Loop Header: Depth=1
	v_mul_hi_u32 v4, 0xbc8f1391, v3
	s_delay_alu instid0(VALU_DEP_1) | instskip(NEXT) | instid1(VALU_DEP_1)
	v_lshrrev_b32_e32 v4, 15, v4
	v_mul_u32_u24_e32 v5, 0xadc8, v4
	s_delay_alu instid0(VALU_DEP_1) | instskip(SKIP_1) | instid1(VALU_DEP_2)
	v_sub_nc_u32_e32 v3, v3, v5
	v_mul_u32_u24_e32 v4, 0xd47, v4
	v_mul_lo_u32 v3, 0xbc8f, v3
	s_delay_alu instid0(VALU_DEP_2) | instskip(SKIP_1) | instid1(VALU_DEP_3)
	v_xor_b32_e32 v5, 0x7fffffff, v4
	v_sub_nc_u32_e32 v10, 0, v4
	v_cmp_lt_u32_e32 vcc_lo, v3, v4
	s_delay_alu instid0(VALU_DEP_2) | instskip(NEXT) | instid1(VALU_DEP_1)
	v_cndmask_b32_e32 v4, v10, v5, vcc_lo
	v_add_nc_u32_e32 v3, v4, v3
	s_delay_alu instid0(VALU_DEP_1) | instskip(NEXT) | instid1(VALU_DEP_1)
	v_mul_hi_u32 v4, 0xbc8f1391, v3
	v_lshrrev_b32_e32 v4, 15, v4
	s_delay_alu instid0(VALU_DEP_1) | instskip(SKIP_1) | instid1(VALU_DEP_2)
	v_mul_u32_u24_e32 v5, 0xadc8, v4
	v_mul_u32_u24_e32 v4, 0xd47, v4
	v_sub_nc_u32_e32 v5, v3, v5
	s_delay_alu instid0(VALU_DEP_2) | instskip(SKIP_1) | instid1(VALU_DEP_3)
	v_xor_b32_e32 v10, 0x7fffffff, v4
	v_add_nc_u32_e32 v3, -1, v3
	v_mul_lo_u32 v5, 0xbc8f, v5
	v_sub_nc_u32_e32 v11, 0, v4
	s_delay_alu instid0(VALU_DEP_2) | instskip(NEXT) | instid1(VALU_DEP_2)
	v_cmp_lt_u32_e32 vcc_lo, v5, v4
	v_cndmask_b32_e32 v4, v11, v10, vcc_lo
	s_delay_alu instid0(VALU_DEP_1) | instskip(NEXT) | instid1(VALU_DEP_1)
	v_add_nc_u32_e32 v5, v4, v5
	v_mul_hi_u32 v4, 0xbc8f1391, v5
	s_delay_alu instid0(VALU_DEP_1) | instskip(NEXT) | instid1(VALU_DEP_1)
	v_lshrrev_b32_e32 v4, 15, v4
	v_mul_u32_u24_e32 v10, 0xadc8, v4
	v_mul_u32_u24_e32 v4, 0xd47, v4
	s_delay_alu instid0(VALU_DEP_2) | instskip(NEXT) | instid1(VALU_DEP_2)
	v_sub_nc_u32_e32 v10, v5, v10
	v_xor_b32_e32 v11, 0x7fffffff, v4
	s_delay_alu instid0(VALU_DEP_2) | instskip(SKIP_1) | instid1(VALU_DEP_2)
	v_mul_lo_u32 v10, 0xbc8f, v10
	v_sub_nc_u32_e32 v13, 0, v4
	v_cmp_lt_u32_e32 vcc_lo, v10, v4
	s_delay_alu instid0(VALU_DEP_2) | instskip(NEXT) | instid1(VALU_DEP_1)
	v_dual_cndmask_b32 v4, v13, v11 :: v_dual_add_f32 v13, 1.0, v12
	v_add_nc_u32_e32 v10, v4, v10
	s_delay_alu instid0(VALU_DEP_1) | instskip(NEXT) | instid1(VALU_DEP_1)
	v_mul_hi_u32 v4, 0xbc8f1391, v10
	v_lshrrev_b32_e32 v4, 15, v4
	s_delay_alu instid0(VALU_DEP_1) | instskip(SKIP_2) | instid1(VALU_DEP_3)
	v_mul_u32_u24_e32 v11, 0xadc8, v4
	v_mul_u32_u24_e32 v17, 0xd47, v4
	v_cvt_f32_u32_e32 v4, v3
	v_sub_nc_u32_e32 v11, v10, v11
	s_delay_alu instid0(VALU_DEP_3) | instskip(SKIP_1) | instid1(VALU_DEP_3)
	v_xor_b32_e32 v3, 0x7fffffff, v17
	v_dual_sub_nc_u32 v18, 0, v17 :: v_dual_add_nc_u32 v10, -1, v10
	v_mul_lo_u32 v11, 0xbc8f, v11
	s_delay_alu instid0(VALU_DEP_2) | instskip(NEXT) | instid1(VALU_DEP_2)
	v_cvt_f32_u32_e32 v10, v10
	v_cmp_lt_u32_e32 vcc_lo, v11, v17
	s_delay_alu instid0(VALU_DEP_4) | instskip(NEXT) | instid1(VALU_DEP_1)
	v_dual_add_nc_u32 v5, -1, v5 :: v_dual_cndmask_b32 v3, v18, v3, vcc_lo
	v_cvt_f32_u32_e32 v5, v5
	s_delay_alu instid0(VALU_DEP_2) | instskip(NEXT) | instid1(VALU_DEP_2)
	v_add_nc_u32_e32 v3, v3, v11
	v_pk_fma_f32 v[4:5], v[4:5], s[2:3], 0 op_sel_hi:[1,0,0]
	s_delay_alu instid0(VALU_DEP_1) | instskip(NEXT) | instid1(VALU_DEP_1)
	v_pk_mul_f32 v[4:5], v[4:5], v[4:5]
	v_dual_add_nc_u32 v11, -1, v3 :: v_dual_add_f32 v17, v4, v5
	s_delay_alu instid0(VALU_DEP_1) | instskip(NEXT) | instid1(VALU_DEP_2)
	v_cvt_f32_u32_e32 v11, v11
	v_cmp_gt_f32_e32 vcc_lo, 0xf800000, v17
	s_delay_alu instid0(VALU_DEP_2) | instskip(SKIP_1) | instid1(SALU_CYCLE_1)
	v_pk_fma_f32 v[4:5], v[10:11], s[2:3], 0 op_sel_hi:[1,0,0]
	s_add_co_i32 s3, s3, -2
	s_cmp_lg_u32 s3, 0
	s_delay_alu instid0(VALU_DEP_1) | instskip(NEXT) | instid1(VALU_DEP_1)
	v_pk_mul_f32 v[4:5], v[4:5], v[4:5]
	v_add_f32_e32 v4, v4, v5
	s_delay_alu instid0(VALU_DEP_1) | instskip(NEXT) | instid1(VALU_DEP_1)
	v_dual_mul_f32 v10, 0x4f800000, v17 :: v_dual_mul_f32 v11, 0x4f800000, v4
	v_cndmask_b32_e32 v10, v17, v10, vcc_lo
	v_cmp_gt_f32_e64 s0, 0xf800000, v4
	s_delay_alu instid0(VALU_DEP_2) | instskip(SKIP_1) | instid1(TRANS32_DEP_1)
	v_sqrt_f32_e32 v5, v10
	v_nop
	v_dual_add_nc_u32 v17, -1, v5 :: v_dual_cndmask_b32 v4, v4, v11, s0
	s_delay_alu instid0(VALU_DEP_1) | instskip(NEXT) | instid1(VALU_DEP_2)
	v_dual_add_nc_u32 v11, 1, v5 :: v_dual_fma_f32 v18, -v17, v5, v10
	v_sqrt_f32_e32 v19, v4
	s_delay_alu instid0(VALU_DEP_1) | instskip(NEXT) | instid1(VALU_DEP_2)
	v_fma_f32 v20, -v11, v5, v10
	v_cmp_ge_f32_e64 s1, 0, v18
	s_delay_alu instid0(TRANS32_DEP_1) | instid1(VALU_DEP_1)
	v_dual_cndmask_b32 v5, v5, v17, s1 :: v_dual_add_nc_u32 v17, -1, v19
	s_delay_alu instid0(VALU_DEP_3) | instskip(NEXT) | instid1(VALU_DEP_1)
	v_cmp_lt_f32_e64 s1, 0, v20
	v_cndmask_b32_e64 v5, v5, v11, s1
	s_delay_alu instid0(VALU_DEP_3) | instskip(NEXT) | instid1(VALU_DEP_1)
	v_dual_add_nc_u32 v11, 1, v19 :: v_dual_fma_f32 v18, -v17, v19, v4
	v_fma_f32 v21, -v11, v19, v4
	s_delay_alu instid0(VALU_DEP_2) | instskip(NEXT) | instid1(VALU_DEP_1)
	v_cmp_ge_f32_e64 s1, 0, v18
	v_cndmask_b32_e64 v17, v19, v17, s1
	v_mul_f32_e32 v20, 0x37800000, v5
	s_delay_alu instid0(VALU_DEP_4) | instskip(NEXT) | instid1(VALU_DEP_1)
	v_cmp_lt_f32_e64 s1, 0, v21
	v_cndmask_b32_e64 v11, v17, v11, s1
	s_delay_alu instid0(VALU_DEP_3) | instskip(SKIP_1) | instid1(VALU_DEP_2)
	v_cndmask_b32_e32 v5, v5, v20, vcc_lo
	v_cmp_class_f32_e64 vcc_lo, v10, 0x260
	v_dual_cndmask_b32 v5, v5, v10 :: v_dual_mul_f32 v10, 0x37800000, v11
	s_delay_alu instid0(VALU_DEP_1) | instskip(NEXT) | instid1(VALU_DEP_2)
	v_cmp_nge_f32_e32 vcc_lo, 1.0, v5
	v_dual_cndmask_b32 v10, v11, v10, s0 :: v_dual_cndmask_b32 v5, v13, v12, vcc_lo
	v_cmp_class_f32_e64 vcc_lo, v4, 0x260
	s_delay_alu instid0(VALU_DEP_2) | instskip(NEXT) | instid1(VALU_DEP_1)
	v_dual_add_f32 v11, 1.0, v5 :: v_dual_cndmask_b32 v4, v10, v4
	v_cmp_nge_f32_e32 vcc_lo, 1.0, v4
	s_delay_alu instid0(VALU_DEP_2)
	v_cndmask_b32_e32 v12, v11, v5, vcc_lo
	s_cbranch_scc1 .LBB27_163
; %bb.164:
	v_dual_mov_b32 v3, 1 :: v_dual_add_nc_u32 v2, 0x3a9800, v2
	s_mov_b32 s1, 0
	s_mov_b32 s14, exec_lo
	s_delay_alu instid0(VALU_DEP_1)
	v_cmpx_ne_u32_e32 0, v2
	s_cbranch_execz .LBB27_194
; %bb.165:
	v_mov_b32_e32 v3, 0
	v_mov_b64_e32 v[10:11], 1
	s_mov_b64 s[10:11], 0xbc8f
	s_mov_b64 s[2:3], 0xfffffffd
	;; [unrolled: 1-line block ×3, first 2 shown]
	v_mov_b64_e32 v[4:5], v[2:3]
	s_mov_b64 s[8:9], 0x80000001
	s_mov_b32 s15, 0
	s_branch .LBB27_167
.LBB27_166:                             ;   in Loop: Header=BB27_167 Depth=1
	s_or_b32 exec_lo, exec_lo, s0
	s_mul_u64 s[10:11], s[10:11], s[10:11]
	s_mov_b32 s19, s1
	s_and_b64 s[20:21], s[10:11], s[2:3]
	s_mov_b32 s0, s11
	s_mul_u64 s[22:23], s[20:21], 3
	s_mul_u64 s[24:25], s[0:1], 3
	s_mov_b32 s18, s23
	s_mul_u64 s[20:21], s[20:21], s[8:9]
	s_add_nc_u64 s[18:19], s[24:25], s[18:19]
	v_lshrrev_b64 v[18:19], 1, v[4:5]
	s_and_b64 s[24:25], s[18:19], s[4:5]
	s_mov_b32 s23, s1
	s_add_nc_u64 s[20:21], s[20:21], s[24:25]
	s_mov_b32 s27, s1
	s_mov_b32 s22, s19
	;; [unrolled: 1-line block ×3, first 2 shown]
	s_mul_u64 s[20:21], s[0:1], s[8:9]
	s_add_nc_u64 s[18:19], s[22:23], s[26:27]
	v_cmp_gt_u64_e32 vcc_lo, 2, v[4:5]
	s_add_nc_u64 s[18:19], s[20:21], s[18:19]
	v_mov_b64_e32 v[4:5], v[18:19]
	s_lshr_b64 s[18:19], s[18:19], 30
	s_delay_alu instid0(SALU_CYCLE_1)
	s_mul_u64 s[18:19], s[18:19], 0x7fffffff
	s_or_b32 s15, vcc_lo, s15
	s_sub_nc_u64 s[10:11], s[10:11], s[18:19]
	s_and_not1_b32 exec_lo, exec_lo, s15
	s_cbranch_execz .LBB27_193
.LBB27_167:                             ; =>This Inner Loop Header: Depth=1
	s_delay_alu instid0(VALU_DEP_1) | instskip(SKIP_1) | instid1(VALU_DEP_1)
	v_and_b32_e32 v2, 1, v4
	s_mov_b32 s0, exec_lo
	v_cmpx_eq_u32_e32 1, v2
	s_cbranch_execz .LBB27_166
; %bb.168:                              ;   in Loop: Header=BB27_167 Depth=1
	v_mul_u64_e32 v[10:11], s[10:11], v[10:11]
	s_delay_alu instid0(VALU_DEP_1) | instskip(NEXT) | instid1(VALU_DEP_1)
	v_mov_b32_e32 v2, v10
	v_mul_u64_e32 v[18:19], 5, v[2:3]
	s_delay_alu instid0(VALU_DEP_1) | instskip(NEXT) | instid1(VALU_DEP_1)
	v_mov_b32_e32 v2, v19
	v_mad_nc_u64_u32 v[18:19], v11, 5, v[2:3]
	s_delay_alu instid0(VALU_DEP_1) | instskip(NEXT) | instid1(VALU_DEP_1)
	v_dual_mov_b32 v2, v19 :: v_dual_mov_b32 v19, v3
	v_mad_nc_u64_u32 v[18:19], v10, 2, v[18:19]
	s_delay_alu instid0(VALU_DEP_1) | instskip(NEXT) | instid1(VALU_DEP_1)
	v_dual_mov_b32 v18, v19 :: v_dual_mov_b32 v19, v3
	v_add_nc_u64_e32 v[18:19], v[2:3], v[18:19]
	s_delay_alu instid0(VALU_DEP_1) | instskip(NEXT) | instid1(VALU_DEP_1)
	v_mad_nc_u64_u32 v[18:19], v11, 2, v[18:19]
	v_sub_nc_u64_e32 v[20:21], v[10:11], v[18:19]
	s_delay_alu instid0(VALU_DEP_1) | instskip(NEXT) | instid1(VALU_DEP_1)
	v_lshrrev_b64 v[20:21], 1, v[20:21]
	v_add_nc_u64_e32 v[18:19], v[20:21], v[18:19]
	s_delay_alu instid0(VALU_DEP_1) | instskip(NEXT) | instid1(VALU_DEP_1)
	v_lshrrev_b64 v[18:19], 30, v[18:19]
	v_mul_u64_e32 v[18:19], 0x7fffffff, v[18:19]
	s_delay_alu instid0(VALU_DEP_1)
	v_sub_nc_u64_e32 v[10:11], v[10:11], v[18:19]
	s_branch .LBB27_166
.LBB27_169:
	s_or_b32 exec_lo, exec_lo, s15
	v_add_min_u32_e64 v3, 0x80000001, v8, v8
	s_delay_alu instid0(VALU_DEP_1)
	v_add_min_u32_e64 v3, 0x80000001, v3, v3
.LBB27_170:
	s_or_b32 exec_lo, exec_lo, s14
	v_mov_b32_e32 v16, 0
	s_movk_i32 s3, 0x1388
	s_brev_b32 s2, 12
.LBB27_171:                             ; =>This Inner Loop Header: Depth=1
	v_mul_hi_u32 v4, 0xbc8f1391, v3
	s_delay_alu instid0(VALU_DEP_1) | instskip(NEXT) | instid1(VALU_DEP_1)
	v_lshrrev_b32_e32 v4, 15, v4
	v_mul_u32_u24_e32 v5, 0xadc8, v4
	s_delay_alu instid0(VALU_DEP_1) | instskip(SKIP_1) | instid1(VALU_DEP_2)
	v_sub_nc_u32_e32 v3, v3, v5
	v_mul_u32_u24_e32 v4, 0xd47, v4
	v_mul_lo_u32 v3, 0xbc8f, v3
	s_delay_alu instid0(VALU_DEP_2) | instskip(SKIP_1) | instid1(VALU_DEP_3)
	v_xor_b32_e32 v5, 0x7fffffff, v4
	v_sub_nc_u32_e32 v6, 0, v4
	v_cmp_lt_u32_e32 vcc_lo, v3, v4
	s_delay_alu instid0(VALU_DEP_2) | instskip(NEXT) | instid1(VALU_DEP_1)
	v_cndmask_b32_e32 v4, v6, v5, vcc_lo
	v_add_nc_u32_e32 v3, v4, v3
	s_delay_alu instid0(VALU_DEP_1) | instskip(NEXT) | instid1(VALU_DEP_1)
	v_mul_hi_u32 v4, 0xbc8f1391, v3
	v_lshrrev_b32_e32 v4, 15, v4
	s_delay_alu instid0(VALU_DEP_1) | instskip(SKIP_1) | instid1(VALU_DEP_2)
	v_mul_u32_u24_e32 v5, 0xadc8, v4
	v_mul_u32_u24_e32 v4, 0xd47, v4
	v_sub_nc_u32_e32 v5, v3, v5
	s_delay_alu instid0(VALU_DEP_2) | instskip(SKIP_1) | instid1(VALU_DEP_3)
	v_xor_b32_e32 v6, 0x7fffffff, v4
	v_add_nc_u32_e32 v3, -1, v3
	v_mul_lo_u32 v5, 0xbc8f, v5
	v_sub_nc_u32_e32 v7, 0, v4
	s_delay_alu instid0(VALU_DEP_2) | instskip(NEXT) | instid1(VALU_DEP_2)
	v_cmp_lt_u32_e32 vcc_lo, v5, v4
	v_cndmask_b32_e32 v4, v7, v6, vcc_lo
	s_delay_alu instid0(VALU_DEP_1) | instskip(NEXT) | instid1(VALU_DEP_1)
	v_add_nc_u32_e32 v5, v4, v5
	v_mul_hi_u32 v4, 0xbc8f1391, v5
	s_delay_alu instid0(VALU_DEP_1) | instskip(NEXT) | instid1(VALU_DEP_1)
	v_lshrrev_b32_e32 v4, 15, v4
	v_mul_u32_u24_e32 v6, 0xadc8, v4
	v_mul_u32_u24_e32 v4, 0xd47, v4
	s_delay_alu instid0(VALU_DEP_2) | instskip(NEXT) | instid1(VALU_DEP_2)
	v_sub_nc_u32_e32 v6, v5, v6
	v_xor_b32_e32 v7, 0x7fffffff, v4
	s_delay_alu instid0(VALU_DEP_2) | instskip(SKIP_1) | instid1(VALU_DEP_2)
	v_mul_lo_u32 v6, 0xbc8f, v6
	v_sub_nc_u32_e32 v8, 0, v4
	v_cmp_lt_u32_e32 vcc_lo, v6, v4
	s_delay_alu instid0(VALU_DEP_2) | instskip(NEXT) | instid1(VALU_DEP_1)
	v_dual_cndmask_b32 v4, v8, v7, vcc_lo :: v_dual_add_f32 v8, 1.0, v16
	v_add_nc_u32_e32 v6, v4, v6
	s_delay_alu instid0(VALU_DEP_1) | instskip(NEXT) | instid1(VALU_DEP_1)
	v_mul_hi_u32 v4, 0xbc8f1391, v6
	v_lshrrev_b32_e32 v4, 15, v4
	s_delay_alu instid0(VALU_DEP_1) | instskip(SKIP_2) | instid1(VALU_DEP_3)
	v_mul_u32_u24_e32 v7, 0xadc8, v4
	v_mul_u32_u24_e32 v9, 0xd47, v4
	v_cvt_f32_u32_e32 v4, v3
	v_sub_nc_u32_e32 v7, v6, v7
	s_delay_alu instid0(VALU_DEP_3) | instskip(SKIP_1) | instid1(VALU_DEP_3)
	v_xor_b32_e32 v3, 0x7fffffff, v9
	v_dual_sub_nc_u32 v17, 0, v9 :: v_dual_add_nc_u32 v6, -1, v6
	v_mul_lo_u32 v7, 0xbc8f, v7
	s_delay_alu instid0(VALU_DEP_2) | instskip(NEXT) | instid1(VALU_DEP_2)
	v_cvt_f32_u32_e32 v6, v6
	v_cmp_lt_u32_e32 vcc_lo, v7, v9
	s_delay_alu instid0(VALU_DEP_4) | instskip(NEXT) | instid1(VALU_DEP_1)
	v_dual_add_nc_u32 v5, -1, v5 :: v_dual_cndmask_b32 v3, v17, v3, vcc_lo
	v_cvt_f32_u32_e32 v5, v5
	s_delay_alu instid0(VALU_DEP_2) | instskip(NEXT) | instid1(VALU_DEP_2)
	v_add_nc_u32_e32 v3, v3, v7
	v_pk_fma_f32 v[4:5], v[4:5], s[2:3], 0 op_sel_hi:[1,0,0]
	s_delay_alu instid0(VALU_DEP_1) | instskip(NEXT) | instid1(VALU_DEP_1)
	v_pk_mul_f32 v[4:5], v[4:5], v[4:5]
	v_dual_add_nc_u32 v7, -1, v3 :: v_dual_add_f32 v9, v4, v5
	s_delay_alu instid0(VALU_DEP_1) | instskip(NEXT) | instid1(VALU_DEP_2)
	v_cvt_f32_u32_e32 v7, v7
	v_cmp_gt_f32_e32 vcc_lo, 0xf800000, v9
	s_delay_alu instid0(VALU_DEP_2) | instskip(SKIP_1) | instid1(SALU_CYCLE_1)
	v_pk_fma_f32 v[4:5], v[6:7], s[2:3], 0 op_sel_hi:[1,0,0]
	s_add_co_i32 s3, s3, -2
	s_cmp_lg_u32 s3, 0
	s_delay_alu instid0(VALU_DEP_1) | instskip(NEXT) | instid1(VALU_DEP_1)
	v_pk_mul_f32 v[4:5], v[4:5], v[4:5]
	v_add_f32_e32 v4, v4, v5
	s_delay_alu instid0(VALU_DEP_1) | instskip(NEXT) | instid1(VALU_DEP_1)
	v_dual_mul_f32 v6, 0x4f800000, v9 :: v_dual_mul_f32 v7, 0x4f800000, v4
	v_cndmask_b32_e32 v6, v9, v6, vcc_lo
	v_cmp_gt_f32_e64 s0, 0xf800000, v4
	s_delay_alu instid0(VALU_DEP_2) | instskip(SKIP_1) | instid1(TRANS32_DEP_1)
	v_sqrt_f32_e32 v5, v6
	v_nop
	v_dual_add_nc_u32 v9, -1, v5 :: v_dual_cndmask_b32 v4, v4, v7, s0
	s_delay_alu instid0(VALU_DEP_1) | instskip(NEXT) | instid1(VALU_DEP_2)
	v_dual_add_nc_u32 v7, 1, v5 :: v_dual_fma_f32 v17, -v9, v5, v6
	v_sqrt_f32_e32 v18, v4
	s_delay_alu instid0(VALU_DEP_1) | instskip(NEXT) | instid1(VALU_DEP_2)
	v_fma_f32 v19, -v7, v5, v6
	v_cmp_ge_f32_e64 s1, 0, v17
	s_delay_alu instid0(TRANS32_DEP_1) | instid1(VALU_DEP_1)
	v_dual_cndmask_b32 v5, v5, v9, s1 :: v_dual_add_nc_u32 v9, -1, v18
	s_delay_alu instid0(VALU_DEP_3) | instskip(NEXT) | instid1(VALU_DEP_2)
	v_cmp_lt_f32_e64 s1, 0, v19
	v_fma_f32 v17, -v9, v18, v4
	s_delay_alu instid0(VALU_DEP_2) | instskip(NEXT) | instid1(VALU_DEP_2)
	v_dual_cndmask_b32 v5, v5, v7, s1 :: v_dual_add_nc_u32 v7, 1, v18
	v_cmp_ge_f32_e64 s1, 0, v17
	s_delay_alu instid0(VALU_DEP_1) | instskip(NEXT) | instid1(VALU_DEP_1)
	v_dual_fma_f32 v21, -v7, v18, v4 :: v_dual_cndmask_b32 v9, v18, v9, s1
	v_cmp_lt_f32_e64 s1, 0, v21
	s_delay_alu instid0(VALU_DEP_1) | instskip(SKIP_1) | instid1(VALU_DEP_1)
	v_cndmask_b32_e64 v7, v9, v7, s1
	v_mul_f32_e32 v19, 0x37800000, v5
	v_cndmask_b32_e32 v5, v5, v19, vcc_lo
	v_cmp_class_f32_e64 vcc_lo, v6, 0x260
	s_delay_alu instid0(VALU_DEP_2) | instskip(NEXT) | instid1(VALU_DEP_1)
	v_cndmask_b32_e32 v5, v5, v6, vcc_lo
	v_cmp_nge_f32_e32 vcc_lo, 1.0, v5
	v_dual_cndmask_b32 v5, v8, v16 :: v_dual_mul_f32 v6, 0x37800000, v7
	v_cmp_class_f32_e64 vcc_lo, v4, 0x260
	s_delay_alu instid0(VALU_DEP_2) | instskip(NEXT) | instid1(VALU_DEP_1)
	v_dual_cndmask_b32 v6, v7, v6, s0 :: v_dual_add_f32 v7, 1.0, v5
	v_cndmask_b32_e32 v4, v6, v4, vcc_lo
	s_delay_alu instid0(VALU_DEP_1) | instskip(NEXT) | instid1(VALU_DEP_3)
	v_cmp_nge_f32_e32 vcc_lo, 1.0, v4
	v_cndmask_b32_e32 v16, v7, v5, vcc_lo
	s_cbranch_scc1 .LBB27_171
; %bb.172:
	v_dual_mov_b32 v3, 1 :: v_dual_add_nc_u32 v4, 0x3a9800, v2
	s_mov_b32 s1, 0
	s_mov_b32 s14, exec_lo
	s_delay_alu instid0(VALU_DEP_1)
	v_cmpx_ne_u32_e32 0, v4
	s_cbranch_execz .LBB27_208
; %bb.173:
	v_mov_b32_e32 v5, 0
	v_mov_b64_e32 v[8:9], 1
	s_mov_b64 s[8:9], 0xbc8f
	s_mov_b64 s[2:3], 0xfffffffd
	;; [unrolled: 1-line block ×3, first 2 shown]
	v_mov_b64_e32 v[6:7], v[4:5]
	s_mov_b64 s[6:7], 0x80000001
	s_mov_b32 s15, 0
	s_branch .LBB27_175
.LBB27_174:                             ;   in Loop: Header=BB27_175 Depth=1
	s_or_b32 exec_lo, exec_lo, s0
	s_mul_u64 s[8:9], s[8:9], s[8:9]
	s_mov_b32 s17, s1
	s_and_b64 s[18:19], s[8:9], s[2:3]
	s_mov_b32 s0, s9
	s_mul_u64 s[22:23], s[18:19], 3
	s_mul_u64 s[24:25], s[0:1], 3
	s_mov_b32 s16, s23
	s_mul_u64 s[18:19], s[18:19], s[6:7]
	s_add_nc_u64 s[16:17], s[24:25], s[16:17]
	v_lshrrev_b64 v[18:19], 1, v[6:7]
	s_and_b64 s[24:25], s[16:17], s[4:5]
	s_mov_b32 s23, s1
	s_add_nc_u64 s[18:19], s[18:19], s[24:25]
	s_mov_b32 s27, s1
	s_mov_b32 s22, s17
	s_mov_b32 s26, s19
	s_mul_u64 s[18:19], s[0:1], s[6:7]
	s_add_nc_u64 s[16:17], s[22:23], s[26:27]
	v_cmp_gt_u64_e32 vcc_lo, 2, v[6:7]
	s_add_nc_u64 s[16:17], s[18:19], s[16:17]
	v_mov_b64_e32 v[6:7], v[18:19]
	s_lshr_b64 s[16:17], s[16:17], 30
	s_delay_alu instid0(SALU_CYCLE_1)
	s_mul_u64 s[16:17], s[16:17], 0x7fffffff
	s_or_b32 s15, vcc_lo, s15
	s_sub_nc_u64 s[8:9], s[8:9], s[16:17]
	s_and_not1_b32 exec_lo, exec_lo, s15
	s_cbranch_execz .LBB27_207
.LBB27_175:                             ; =>This Inner Loop Header: Depth=1
	s_delay_alu instid0(VALU_DEP_1) | instskip(SKIP_1) | instid1(VALU_DEP_1)
	v_and_b32_e32 v3, 1, v6
	s_mov_b32 s0, exec_lo
	v_cmpx_eq_u32_e32 1, v3
	s_cbranch_execz .LBB27_174
; %bb.176:                              ;   in Loop: Header=BB27_175 Depth=1
	v_mul_u64_e32 v[8:9], s[8:9], v[8:9]
	s_delay_alu instid0(VALU_DEP_1) | instskip(NEXT) | instid1(VALU_DEP_1)
	v_mov_b32_e32 v4, v8
	v_mul_u64_e32 v[18:19], 5, v[4:5]
	s_delay_alu instid0(VALU_DEP_1) | instskip(NEXT) | instid1(VALU_DEP_1)
	v_mov_b32_e32 v4, v19
	v_mad_nc_u64_u32 v[18:19], v9, 5, v[4:5]
	s_delay_alu instid0(VALU_DEP_1) | instskip(NEXT) | instid1(VALU_DEP_1)
	v_dual_mov_b32 v4, v19 :: v_dual_mov_b32 v19, v5
	v_mad_nc_u64_u32 v[18:19], v8, 2, v[18:19]
	s_delay_alu instid0(VALU_DEP_1) | instskip(NEXT) | instid1(VALU_DEP_1)
	v_dual_mov_b32 v18, v19 :: v_dual_mov_b32 v19, v5
	v_add_nc_u64_e32 v[18:19], v[4:5], v[18:19]
	s_delay_alu instid0(VALU_DEP_1) | instskip(NEXT) | instid1(VALU_DEP_1)
	v_mad_nc_u64_u32 v[18:19], v9, 2, v[18:19]
	v_sub_nc_u64_e32 v[22:23], v[8:9], v[18:19]
	s_delay_alu instid0(VALU_DEP_1) | instskip(NEXT) | instid1(VALU_DEP_1)
	v_lshrrev_b64 v[22:23], 1, v[22:23]
	v_add_nc_u64_e32 v[18:19], v[22:23], v[18:19]
	s_delay_alu instid0(VALU_DEP_1) | instskip(NEXT) | instid1(VALU_DEP_1)
	v_lshrrev_b64 v[18:19], 30, v[18:19]
	v_mul_u64_e32 v[18:19], 0x7fffffff, v[18:19]
	s_delay_alu instid0(VALU_DEP_1)
	v_sub_nc_u64_e32 v[8:9], v[8:9], v[18:19]
	s_branch .LBB27_174
.LBB27_177:
	s_or_b32 exec_lo, exec_lo, s13
	v_add_min_u32_e64 v3, 0x80000001, v8, v8
	s_delay_alu instid0(VALU_DEP_1)
	v_add_min_u32_e64 v3, 0x80000001, v3, v3
.LBB27_178:
	s_or_b32 exec_lo, exec_lo, s12
	v_mov_b32_e32 v12, 0
	s_movk_i32 s3, 0x1388
	s_brev_b32 s2, 12
.LBB27_179:                             ; =>This Inner Loop Header: Depth=1
	v_mul_hi_u32 v4, 0xbc8f1391, v3
	s_delay_alu instid0(VALU_DEP_1) | instskip(NEXT) | instid1(VALU_DEP_1)
	v_lshrrev_b32_e32 v4, 15, v4
	v_mul_u32_u24_e32 v5, 0xadc8, v4
	s_delay_alu instid0(VALU_DEP_1) | instskip(SKIP_1) | instid1(VALU_DEP_2)
	v_sub_nc_u32_e32 v3, v3, v5
	v_mul_u32_u24_e32 v4, 0xd47, v4
	v_mul_lo_u32 v3, 0xbc8f, v3
	s_delay_alu instid0(VALU_DEP_2) | instskip(SKIP_1) | instid1(VALU_DEP_3)
	v_xor_b32_e32 v5, 0x7fffffff, v4
	v_sub_nc_u32_e32 v6, 0, v4
	v_cmp_lt_u32_e32 vcc_lo, v3, v4
	s_delay_alu instid0(VALU_DEP_2) | instskip(NEXT) | instid1(VALU_DEP_1)
	v_cndmask_b32_e32 v4, v6, v5, vcc_lo
	v_add_nc_u32_e32 v3, v4, v3
	s_delay_alu instid0(VALU_DEP_1) | instskip(NEXT) | instid1(VALU_DEP_1)
	v_mul_hi_u32 v4, 0xbc8f1391, v3
	v_lshrrev_b32_e32 v4, 15, v4
	s_delay_alu instid0(VALU_DEP_1) | instskip(SKIP_1) | instid1(VALU_DEP_2)
	v_mul_u32_u24_e32 v5, 0xadc8, v4
	v_mul_u32_u24_e32 v4, 0xd47, v4
	v_sub_nc_u32_e32 v5, v3, v5
	s_delay_alu instid0(VALU_DEP_2) | instskip(SKIP_1) | instid1(VALU_DEP_3)
	v_xor_b32_e32 v6, 0x7fffffff, v4
	v_add_nc_u32_e32 v3, -1, v3
	v_mul_lo_u32 v5, 0xbc8f, v5
	v_sub_nc_u32_e32 v7, 0, v4
	s_delay_alu instid0(VALU_DEP_2) | instskip(NEXT) | instid1(VALU_DEP_2)
	v_cmp_lt_u32_e32 vcc_lo, v5, v4
	v_cndmask_b32_e32 v4, v7, v6, vcc_lo
	s_delay_alu instid0(VALU_DEP_1) | instskip(NEXT) | instid1(VALU_DEP_1)
	v_add_nc_u32_e32 v5, v4, v5
	v_mul_hi_u32 v4, 0xbc8f1391, v5
	s_delay_alu instid0(VALU_DEP_1) | instskip(NEXT) | instid1(VALU_DEP_1)
	v_lshrrev_b32_e32 v4, 15, v4
	v_mul_u32_u24_e32 v6, 0xadc8, v4
	v_mul_u32_u24_e32 v4, 0xd47, v4
	s_delay_alu instid0(VALU_DEP_2) | instskip(NEXT) | instid1(VALU_DEP_2)
	v_sub_nc_u32_e32 v6, v5, v6
	v_xor_b32_e32 v7, 0x7fffffff, v4
	s_delay_alu instid0(VALU_DEP_2) | instskip(SKIP_1) | instid1(VALU_DEP_2)
	v_mul_lo_u32 v6, 0xbc8f, v6
	v_sub_nc_u32_e32 v8, 0, v4
	v_cmp_lt_u32_e32 vcc_lo, v6, v4
	s_delay_alu instid0(VALU_DEP_2) | instskip(NEXT) | instid1(VALU_DEP_1)
	v_dual_cndmask_b32 v4, v8, v7, vcc_lo :: v_dual_add_f32 v8, 1.0, v12
	v_add_nc_u32_e32 v6, v4, v6
	s_delay_alu instid0(VALU_DEP_1) | instskip(NEXT) | instid1(VALU_DEP_1)
	v_mul_hi_u32 v4, 0xbc8f1391, v6
	v_lshrrev_b32_e32 v4, 15, v4
	s_delay_alu instid0(VALU_DEP_1) | instskip(SKIP_2) | instid1(VALU_DEP_3)
	v_mul_u32_u24_e32 v7, 0xadc8, v4
	v_mul_u32_u24_e32 v9, 0xd47, v4
	v_cvt_f32_u32_e32 v4, v3
	v_sub_nc_u32_e32 v7, v6, v7
	s_delay_alu instid0(VALU_DEP_3) | instskip(SKIP_1) | instid1(VALU_DEP_3)
	v_xor_b32_e32 v3, 0x7fffffff, v9
	v_dual_sub_nc_u32 v13, 0, v9 :: v_dual_add_nc_u32 v6, -1, v6
	v_mul_lo_u32 v7, 0xbc8f, v7
	s_delay_alu instid0(VALU_DEP_2) | instskip(NEXT) | instid1(VALU_DEP_2)
	v_cvt_f32_u32_e32 v6, v6
	v_cmp_lt_u32_e32 vcc_lo, v7, v9
	s_delay_alu instid0(VALU_DEP_4) | instskip(NEXT) | instid1(VALU_DEP_1)
	v_dual_add_nc_u32 v5, -1, v5 :: v_dual_cndmask_b32 v3, v13, v3, vcc_lo
	v_cvt_f32_u32_e32 v5, v5
	s_delay_alu instid0(VALU_DEP_2) | instskip(NEXT) | instid1(VALU_DEP_2)
	v_add_nc_u32_e32 v3, v3, v7
	v_pk_fma_f32 v[4:5], v[4:5], s[2:3], 0 op_sel_hi:[1,0,0]
	s_delay_alu instid0(VALU_DEP_1) | instskip(NEXT) | instid1(VALU_DEP_1)
	v_pk_mul_f32 v[4:5], v[4:5], v[4:5]
	v_dual_add_nc_u32 v7, -1, v3 :: v_dual_add_f32 v9, v4, v5
	s_delay_alu instid0(VALU_DEP_1) | instskip(NEXT) | instid1(VALU_DEP_2)
	v_cvt_f32_u32_e32 v7, v7
	v_cmp_gt_f32_e32 vcc_lo, 0xf800000, v9
	s_delay_alu instid0(VALU_DEP_2) | instskip(SKIP_1) | instid1(SALU_CYCLE_1)
	v_pk_fma_f32 v[4:5], v[6:7], s[2:3], 0 op_sel_hi:[1,0,0]
	s_add_co_i32 s3, s3, -2
	s_cmp_lg_u32 s3, 0
	s_delay_alu instid0(VALU_DEP_1) | instskip(NEXT) | instid1(VALU_DEP_1)
	v_pk_mul_f32 v[4:5], v[4:5], v[4:5]
	v_add_f32_e32 v4, v4, v5
	s_delay_alu instid0(VALU_DEP_1) | instskip(NEXT) | instid1(VALU_DEP_1)
	v_dual_mul_f32 v6, 0x4f800000, v9 :: v_dual_mul_f32 v7, 0x4f800000, v4
	v_cndmask_b32_e32 v6, v9, v6, vcc_lo
	v_cmp_gt_f32_e64 s0, 0xf800000, v4
	s_delay_alu instid0(VALU_DEP_2) | instskip(SKIP_1) | instid1(TRANS32_DEP_1)
	v_sqrt_f32_e32 v5, v6
	v_nop
	v_dual_add_nc_u32 v9, -1, v5 :: v_dual_cndmask_b32 v4, v4, v7, s0
	s_delay_alu instid0(VALU_DEP_1) | instskip(NEXT) | instid1(VALU_DEP_2)
	v_dual_add_nc_u32 v7, 1, v5 :: v_dual_fma_f32 v13, -v9, v5, v6
	v_sqrt_f32_e32 v14, v4
	s_delay_alu instid0(VALU_DEP_1) | instskip(NEXT) | instid1(VALU_DEP_2)
	v_fma_f32 v15, -v7, v5, v6
	v_cmp_ge_f32_e64 s1, 0, v13
	s_delay_alu instid0(TRANS32_DEP_1) | instid1(VALU_DEP_1)
	v_dual_cndmask_b32 v5, v5, v9, s1 :: v_dual_add_nc_u32 v9, -1, v14
	s_delay_alu instid0(VALU_DEP_3) | instskip(NEXT) | instid1(VALU_DEP_2)
	v_cmp_lt_f32_e64 s1, 0, v15
	v_fma_f32 v13, -v9, v14, v4
	s_delay_alu instid0(VALU_DEP_2) | instskip(NEXT) | instid1(VALU_DEP_2)
	v_dual_cndmask_b32 v5, v5, v7, s1 :: v_dual_add_nc_u32 v7, 1, v14
	v_cmp_ge_f32_e64 s1, 0, v13
	s_delay_alu instid0(VALU_DEP_1) | instskip(NEXT) | instid1(VALU_DEP_1)
	v_dual_fma_f32 v16, -v7, v14, v4 :: v_dual_cndmask_b32 v9, v14, v9, s1
	v_cmp_lt_f32_e64 s1, 0, v16
	s_delay_alu instid0(VALU_DEP_1) | instskip(SKIP_1) | instid1(VALU_DEP_1)
	v_cndmask_b32_e64 v7, v9, v7, s1
	v_mul_f32_e32 v15, 0x37800000, v5
	v_cndmask_b32_e32 v5, v5, v15, vcc_lo
	v_cmp_class_f32_e64 vcc_lo, v6, 0x260
	s_delay_alu instid0(VALU_DEP_2) | instskip(NEXT) | instid1(VALU_DEP_1)
	v_cndmask_b32_e32 v5, v5, v6, vcc_lo
	v_cmp_nge_f32_e32 vcc_lo, 1.0, v5
	v_dual_cndmask_b32 v5, v8, v12 :: v_dual_mul_f32 v6, 0x37800000, v7
	v_cmp_class_f32_e64 vcc_lo, v4, 0x260
	s_delay_alu instid0(VALU_DEP_2) | instskip(NEXT) | instid1(VALU_DEP_1)
	v_dual_cndmask_b32 v6, v7, v6, s0 :: v_dual_add_f32 v7, 1.0, v5
	v_cndmask_b32_e32 v4, v6, v4, vcc_lo
	s_delay_alu instid0(VALU_DEP_1) | instskip(NEXT) | instid1(VALU_DEP_3)
	v_cmp_nge_f32_e32 vcc_lo, 1.0, v4
	v_cndmask_b32_e32 v12, v7, v5, vcc_lo
	s_cbranch_scc1 .LBB27_179
; %bb.180:
	v_dual_mov_b32 v3, 1 :: v_dual_add_nc_u32 v4, 0x3a9800, v2
	s_mov_b32 s1, 0
	s_mov_b32 s12, exec_lo
	s_delay_alu instid0(VALU_DEP_1)
	v_cmpx_ne_u32_e32 0, v4
	s_cbranch_execz .LBB27_216
; %bb.181:
	v_mov_b32_e32 v5, 0
	v_mov_b64_e32 v[8:9], 1
	s_mov_b64 s[8:9], 0xbc8f
	s_mov_b64 s[2:3], 0xfffffffd
	s_mov_b64 s[4:5], 0xffffffff
	v_mov_b64_e32 v[6:7], v[4:5]
	s_mov_b64 s[6:7], 0x80000001
	s_mov_b32 s13, 0
	s_branch .LBB27_183
.LBB27_182:                             ;   in Loop: Header=BB27_183 Depth=1
	s_or_b32 exec_lo, exec_lo, s0
	s_mul_u64 s[8:9], s[8:9], s[8:9]
	s_mov_b32 s15, s1
	s_and_b64 s[16:17], s[8:9], s[2:3]
	s_mov_b32 s0, s9
	s_mul_u64 s[20:21], s[16:17], 3
	s_mul_u64 s[22:23], s[0:1], 3
	s_mov_b32 s14, s21
	s_mul_u64 s[16:17], s[16:17], s[6:7]
	s_add_nc_u64 s[14:15], s[22:23], s[14:15]
	v_lshrrev_b64 v[14:15], 1, v[6:7]
	s_and_b64 s[22:23], s[14:15], s[4:5]
	s_mov_b32 s21, s1
	s_add_nc_u64 s[16:17], s[16:17], s[22:23]
	s_mov_b32 s25, s1
	s_mov_b32 s20, s15
	;; [unrolled: 1-line block ×3, first 2 shown]
	s_mul_u64 s[16:17], s[0:1], s[6:7]
	s_add_nc_u64 s[14:15], s[20:21], s[24:25]
	v_cmp_gt_u64_e32 vcc_lo, 2, v[6:7]
	s_add_nc_u64 s[14:15], s[16:17], s[14:15]
	v_mov_b64_e32 v[6:7], v[14:15]
	s_lshr_b64 s[14:15], s[14:15], 30
	s_delay_alu instid0(SALU_CYCLE_1)
	s_mul_u64 s[14:15], s[14:15], 0x7fffffff
	s_or_b32 s13, vcc_lo, s13
	s_sub_nc_u64 s[8:9], s[8:9], s[14:15]
	s_and_not1_b32 exec_lo, exec_lo, s13
	s_cbranch_execz .LBB27_215
.LBB27_183:                             ; =>This Inner Loop Header: Depth=1
	s_delay_alu instid0(VALU_DEP_1) | instskip(SKIP_1) | instid1(VALU_DEP_1)
	v_and_b32_e32 v3, 1, v6
	s_mov_b32 s0, exec_lo
	v_cmpx_eq_u32_e32 1, v3
	s_cbranch_execz .LBB27_182
; %bb.184:                              ;   in Loop: Header=BB27_183 Depth=1
	v_mul_u64_e32 v[8:9], s[8:9], v[8:9]
	s_delay_alu instid0(VALU_DEP_1) | instskip(NEXT) | instid1(VALU_DEP_1)
	v_mov_b32_e32 v4, v8
	v_mul_u64_e32 v[14:15], 5, v[4:5]
	s_delay_alu instid0(VALU_DEP_1) | instskip(NEXT) | instid1(VALU_DEP_1)
	v_mov_b32_e32 v4, v15
	v_mad_nc_u64_u32 v[14:15], v9, 5, v[4:5]
	s_delay_alu instid0(VALU_DEP_1) | instskip(NEXT) | instid1(VALU_DEP_1)
	v_dual_mov_b32 v4, v15 :: v_dual_mov_b32 v15, v5
	v_mad_nc_u64_u32 v[14:15], v8, 2, v[14:15]
	s_delay_alu instid0(VALU_DEP_1) | instskip(NEXT) | instid1(VALU_DEP_1)
	v_dual_mov_b32 v14, v15 :: v_dual_mov_b32 v15, v5
	v_add_nc_u64_e32 v[14:15], v[4:5], v[14:15]
	s_delay_alu instid0(VALU_DEP_1) | instskip(NEXT) | instid1(VALU_DEP_1)
	v_mad_nc_u64_u32 v[14:15], v9, 2, v[14:15]
	v_sub_nc_u64_e32 v[16:17], v[8:9], v[14:15]
	s_delay_alu instid0(VALU_DEP_1) | instskip(NEXT) | instid1(VALU_DEP_1)
	v_lshrrev_b64 v[16:17], 1, v[16:17]
	v_add_nc_u64_e32 v[14:15], v[16:17], v[14:15]
	s_delay_alu instid0(VALU_DEP_1) | instskip(NEXT) | instid1(VALU_DEP_1)
	v_lshrrev_b64 v[14:15], 30, v[14:15]
	v_mul_u64_e32 v[14:15], 0x7fffffff, v[14:15]
	s_delay_alu instid0(VALU_DEP_1)
	v_sub_nc_u64_e32 v[8:9], v[8:9], v[14:15]
	s_branch .LBB27_182
.LBB27_185:
	s_or_b32 exec_lo, exec_lo, s13
	v_add_min_u32_e64 v1, 0x80000001, v6, v6
	s_delay_alu instid0(VALU_DEP_1)
	v_add_min_u32_e64 v1, 0x80000001, v1, v1
.LBB27_186:
	s_or_b32 exec_lo, exec_lo, s12
	v_mov_b32_e32 v10, 0
	s_movk_i32 s3, 0x1388
	s_brev_b32 s2, 12
.LBB27_187:                             ; =>This Inner Loop Header: Depth=1
	v_mul_hi_u32 v2, 0xbc8f1391, v1
	s_delay_alu instid0(VALU_DEP_1) | instskip(NEXT) | instid1(VALU_DEP_1)
	v_lshrrev_b32_e32 v2, 15, v2
	v_mul_u32_u24_e32 v3, 0xadc8, v2
	s_delay_alu instid0(VALU_DEP_1) | instskip(SKIP_1) | instid1(VALU_DEP_2)
	v_sub_nc_u32_e32 v1, v1, v3
	v_mul_u32_u24_e32 v2, 0xd47, v2
	v_mul_lo_u32 v1, 0xbc8f, v1
	s_delay_alu instid0(VALU_DEP_2) | instskip(SKIP_1) | instid1(VALU_DEP_3)
	v_xor_b32_e32 v3, 0x7fffffff, v2
	v_sub_nc_u32_e32 v4, 0, v2
	v_cmp_lt_u32_e32 vcc_lo, v1, v2
	s_delay_alu instid0(VALU_DEP_2) | instskip(NEXT) | instid1(VALU_DEP_1)
	v_cndmask_b32_e32 v2, v4, v3, vcc_lo
	v_add_nc_u32_e32 v1, v2, v1
	s_delay_alu instid0(VALU_DEP_1) | instskip(NEXT) | instid1(VALU_DEP_1)
	v_mul_hi_u32 v2, 0xbc8f1391, v1
	v_lshrrev_b32_e32 v2, 15, v2
	s_delay_alu instid0(VALU_DEP_1) | instskip(SKIP_1) | instid1(VALU_DEP_2)
	v_mul_u32_u24_e32 v3, 0xadc8, v2
	v_mul_u32_u24_e32 v2, 0xd47, v2
	v_sub_nc_u32_e32 v3, v1, v3
	s_delay_alu instid0(VALU_DEP_2) | instskip(SKIP_1) | instid1(VALU_DEP_3)
	v_xor_b32_e32 v4, 0x7fffffff, v2
	v_add_nc_u32_e32 v1, -1, v1
	v_mul_lo_u32 v3, 0xbc8f, v3
	v_sub_nc_u32_e32 v5, 0, v2
	s_delay_alu instid0(VALU_DEP_2) | instskip(NEXT) | instid1(VALU_DEP_2)
	v_cmp_lt_u32_e32 vcc_lo, v3, v2
	v_cndmask_b32_e32 v2, v5, v4, vcc_lo
	s_delay_alu instid0(VALU_DEP_1) | instskip(NEXT) | instid1(VALU_DEP_1)
	v_add_nc_u32_e32 v3, v2, v3
	v_mul_hi_u32 v2, 0xbc8f1391, v3
	s_delay_alu instid0(VALU_DEP_1) | instskip(NEXT) | instid1(VALU_DEP_1)
	v_lshrrev_b32_e32 v2, 15, v2
	v_mul_u32_u24_e32 v4, 0xadc8, v2
	v_mul_u32_u24_e32 v2, 0xd47, v2
	s_delay_alu instid0(VALU_DEP_2) | instskip(NEXT) | instid1(VALU_DEP_2)
	v_sub_nc_u32_e32 v4, v3, v4
	v_xor_b32_e32 v5, 0x7fffffff, v2
	s_delay_alu instid0(VALU_DEP_2) | instskip(SKIP_1) | instid1(VALU_DEP_2)
	v_mul_lo_u32 v4, 0xbc8f, v4
	v_sub_nc_u32_e32 v6, 0, v2
	v_cmp_lt_u32_e32 vcc_lo, v4, v2
	s_delay_alu instid0(VALU_DEP_2) | instskip(NEXT) | instid1(VALU_DEP_1)
	v_dual_cndmask_b32 v2, v6, v5, vcc_lo :: v_dual_add_f32 v6, 1.0, v10
	v_add_nc_u32_e32 v4, v2, v4
	s_delay_alu instid0(VALU_DEP_1) | instskip(NEXT) | instid1(VALU_DEP_1)
	v_mul_hi_u32 v2, 0xbc8f1391, v4
	v_lshrrev_b32_e32 v2, 15, v2
	s_delay_alu instid0(VALU_DEP_1) | instskip(SKIP_2) | instid1(VALU_DEP_3)
	v_mul_u32_u24_e32 v5, 0xadc8, v2
	v_mul_u32_u24_e32 v7, 0xd47, v2
	v_cvt_f32_u32_e32 v2, v1
	v_sub_nc_u32_e32 v5, v4, v5
	s_delay_alu instid0(VALU_DEP_3) | instskip(SKIP_1) | instid1(VALU_DEP_3)
	v_xor_b32_e32 v1, 0x7fffffff, v7
	v_dual_sub_nc_u32 v11, 0, v7 :: v_dual_add_nc_u32 v4, -1, v4
	v_mul_lo_u32 v5, 0xbc8f, v5
	s_delay_alu instid0(VALU_DEP_2) | instskip(NEXT) | instid1(VALU_DEP_2)
	v_cvt_f32_u32_e32 v4, v4
	v_cmp_lt_u32_e32 vcc_lo, v5, v7
	s_delay_alu instid0(VALU_DEP_4) | instskip(NEXT) | instid1(VALU_DEP_1)
	v_dual_add_nc_u32 v3, -1, v3 :: v_dual_cndmask_b32 v1, v11, v1, vcc_lo
	v_cvt_f32_u32_e32 v3, v3
	s_delay_alu instid0(VALU_DEP_2) | instskip(NEXT) | instid1(VALU_DEP_2)
	v_add_nc_u32_e32 v1, v1, v5
	v_pk_fma_f32 v[2:3], v[2:3], s[2:3], 0 op_sel_hi:[1,0,0]
	s_delay_alu instid0(VALU_DEP_1) | instskip(NEXT) | instid1(VALU_DEP_1)
	v_pk_mul_f32 v[2:3], v[2:3], v[2:3]
	v_dual_add_nc_u32 v5, -1, v1 :: v_dual_add_f32 v7, v2, v3
	s_delay_alu instid0(VALU_DEP_1) | instskip(NEXT) | instid1(VALU_DEP_2)
	v_cvt_f32_u32_e32 v5, v5
	v_cmp_gt_f32_e32 vcc_lo, 0xf800000, v7
	s_delay_alu instid0(VALU_DEP_2) | instskip(SKIP_1) | instid1(SALU_CYCLE_1)
	v_pk_fma_f32 v[2:3], v[4:5], s[2:3], 0 op_sel_hi:[1,0,0]
	s_add_co_i32 s3, s3, -2
	s_cmp_lg_u32 s3, 0
	s_delay_alu instid0(VALU_DEP_1) | instskip(NEXT) | instid1(VALU_DEP_1)
	v_pk_mul_f32 v[2:3], v[2:3], v[2:3]
	v_add_f32_e32 v2, v2, v3
	s_delay_alu instid0(VALU_DEP_1) | instskip(NEXT) | instid1(VALU_DEP_1)
	v_dual_mul_f32 v4, 0x4f800000, v7 :: v_dual_mul_f32 v5, 0x4f800000, v2
	v_cndmask_b32_e32 v4, v7, v4, vcc_lo
	v_cmp_gt_f32_e64 s0, 0xf800000, v2
	s_delay_alu instid0(VALU_DEP_2) | instskip(SKIP_1) | instid1(TRANS32_DEP_1)
	v_sqrt_f32_e32 v3, v4
	v_nop
	v_dual_add_nc_u32 v7, -1, v3 :: v_dual_cndmask_b32 v2, v2, v5, s0
	s_delay_alu instid0(VALU_DEP_1) | instskip(NEXT) | instid1(VALU_DEP_2)
	v_dual_add_nc_u32 v5, 1, v3 :: v_dual_fma_f32 v11, -v7, v3, v4
	v_sqrt_f32_e32 v12, v2
	s_delay_alu instid0(VALU_DEP_1) | instskip(NEXT) | instid1(VALU_DEP_2)
	v_fma_f32 v13, -v5, v3, v4
	v_cmp_ge_f32_e64 s1, 0, v11
	s_delay_alu instid0(TRANS32_DEP_1) | instid1(VALU_DEP_1)
	v_dual_cndmask_b32 v3, v3, v7, s1 :: v_dual_add_nc_u32 v7, -1, v12
	s_delay_alu instid0(VALU_DEP_3) | instskip(NEXT) | instid1(VALU_DEP_2)
	v_cmp_lt_f32_e64 s1, 0, v13
	v_fma_f32 v11, -v7, v12, v2
	s_delay_alu instid0(VALU_DEP_2) | instskip(NEXT) | instid1(VALU_DEP_2)
	v_dual_cndmask_b32 v3, v3, v5, s1 :: v_dual_add_nc_u32 v5, 1, v12
	v_cmp_ge_f32_e64 s1, 0, v11
	s_delay_alu instid0(VALU_DEP_1) | instskip(NEXT) | instid1(VALU_DEP_1)
	v_dual_fma_f32 v14, -v5, v12, v2 :: v_dual_cndmask_b32 v7, v12, v7, s1
	v_cmp_lt_f32_e64 s1, 0, v14
	s_delay_alu instid0(VALU_DEP_1) | instskip(SKIP_1) | instid1(VALU_DEP_1)
	v_cndmask_b32_e64 v5, v7, v5, s1
	v_mul_f32_e32 v13, 0x37800000, v3
	v_cndmask_b32_e32 v3, v3, v13, vcc_lo
	v_cmp_class_f32_e64 vcc_lo, v4, 0x260
	s_delay_alu instid0(VALU_DEP_2) | instskip(NEXT) | instid1(VALU_DEP_1)
	v_cndmask_b32_e32 v3, v3, v4, vcc_lo
	v_cmp_nge_f32_e32 vcc_lo, 1.0, v3
	v_dual_cndmask_b32 v3, v6, v10 :: v_dual_mul_f32 v4, 0x37800000, v5
	v_cmp_class_f32_e64 vcc_lo, v2, 0x260
	s_delay_alu instid0(VALU_DEP_2) | instskip(NEXT) | instid1(VALU_DEP_1)
	v_dual_cndmask_b32 v4, v5, v4, s0 :: v_dual_add_f32 v5, 1.0, v3
	v_cndmask_b32_e32 v2, v4, v2, vcc_lo
	s_delay_alu instid0(VALU_DEP_1) | instskip(NEXT) | instid1(VALU_DEP_3)
	v_cmp_nge_f32_e32 vcc_lo, 1.0, v2
	v_cndmask_b32_e32 v10, v5, v3, vcc_lo
	s_cbranch_scc1 .LBB27_187
; %bb.188:
	v_dual_mov_b32 v1, 1 :: v_dual_add_nc_u32 v2, 0x3a9800, v0
	s_mov_b32 s1, 0
	s_mov_b32 s12, exec_lo
	s_delay_alu instid0(VALU_DEP_1)
	v_cmpx_ne_u32_e32 0, v2
	s_cbranch_execz .LBB27_224
; %bb.189:
	v_mov_b32_e32 v3, 0
	v_mov_b64_e32 v[6:7], 1
	s_mov_b64 s[8:9], 0xbc8f
	s_mov_b64 s[2:3], 0xfffffffd
	;; [unrolled: 1-line block ×3, first 2 shown]
	v_mov_b64_e32 v[4:5], v[2:3]
	s_mov_b64 s[6:7], 0x80000001
	s_mov_b32 s13, 0
	s_branch .LBB27_191
.LBB27_190:                             ;   in Loop: Header=BB27_191 Depth=1
	s_or_b32 exec_lo, exec_lo, s0
	s_mul_u64 s[8:9], s[8:9], s[8:9]
	s_mov_b32 s15, s1
	s_and_b64 s[16:17], s[8:9], s[2:3]
	s_mov_b32 s0, s9
	s_mul_u64 s[18:19], s[16:17], 3
	s_mul_u64 s[20:21], s[0:1], 3
	s_mov_b32 s14, s19
	s_mul_u64 s[16:17], s[16:17], s[6:7]
	s_add_nc_u64 s[14:15], s[20:21], s[14:15]
	v_lshrrev_b64 v[12:13], 1, v[4:5]
	s_and_b64 s[20:21], s[14:15], s[4:5]
	s_mov_b32 s19, s1
	s_add_nc_u64 s[16:17], s[16:17], s[20:21]
	s_mov_b32 s23, s1
	s_mov_b32 s18, s15
	;; [unrolled: 1-line block ×3, first 2 shown]
	s_mul_u64 s[16:17], s[0:1], s[6:7]
	s_add_nc_u64 s[14:15], s[18:19], s[22:23]
	v_cmp_gt_u64_e32 vcc_lo, 2, v[4:5]
	s_add_nc_u64 s[14:15], s[16:17], s[14:15]
	v_mov_b64_e32 v[4:5], v[12:13]
	s_lshr_b64 s[14:15], s[14:15], 30
	s_delay_alu instid0(SALU_CYCLE_1)
	s_mul_u64 s[14:15], s[14:15], 0x7fffffff
	s_or_b32 s13, vcc_lo, s13
	s_sub_nc_u64 s[8:9], s[8:9], s[14:15]
	s_and_not1_b32 exec_lo, exec_lo, s13
	s_cbranch_execz .LBB27_223
.LBB27_191:                             ; =>This Inner Loop Header: Depth=1
	s_delay_alu instid0(VALU_DEP_1) | instskip(SKIP_1) | instid1(VALU_DEP_1)
	v_and_b32_e32 v1, 1, v4
	s_mov_b32 s0, exec_lo
	v_cmpx_eq_u32_e32 1, v1
	s_cbranch_execz .LBB27_190
; %bb.192:                              ;   in Loop: Header=BB27_191 Depth=1
	v_mul_u64_e32 v[6:7], s[8:9], v[6:7]
	s_delay_alu instid0(VALU_DEP_1) | instskip(NEXT) | instid1(VALU_DEP_1)
	v_mov_b32_e32 v2, v6
	v_mul_u64_e32 v[12:13], 5, v[2:3]
	s_delay_alu instid0(VALU_DEP_1) | instskip(NEXT) | instid1(VALU_DEP_1)
	v_mov_b32_e32 v2, v13
	v_mad_nc_u64_u32 v[12:13], v7, 5, v[2:3]
	s_delay_alu instid0(VALU_DEP_1) | instskip(NEXT) | instid1(VALU_DEP_1)
	v_dual_mov_b32 v2, v13 :: v_dual_mov_b32 v13, v3
	v_mad_nc_u64_u32 v[12:13], v6, 2, v[12:13]
	s_delay_alu instid0(VALU_DEP_1) | instskip(NEXT) | instid1(VALU_DEP_1)
	v_dual_mov_b32 v12, v13 :: v_dual_mov_b32 v13, v3
	v_add_nc_u64_e32 v[12:13], v[2:3], v[12:13]
	s_delay_alu instid0(VALU_DEP_1) | instskip(NEXT) | instid1(VALU_DEP_1)
	v_mad_nc_u64_u32 v[12:13], v7, 2, v[12:13]
	v_sub_nc_u64_e32 v[14:15], v[6:7], v[12:13]
	s_delay_alu instid0(VALU_DEP_1) | instskip(NEXT) | instid1(VALU_DEP_1)
	v_lshrrev_b64 v[14:15], 1, v[14:15]
	v_add_nc_u64_e32 v[12:13], v[14:15], v[12:13]
	s_delay_alu instid0(VALU_DEP_1) | instskip(NEXT) | instid1(VALU_DEP_1)
	v_lshrrev_b64 v[12:13], 30, v[12:13]
	v_mul_u64_e32 v[12:13], 0x7fffffff, v[12:13]
	s_delay_alu instid0(VALU_DEP_1)
	v_sub_nc_u64_e32 v[6:7], v[6:7], v[12:13]
	s_branch .LBB27_190
.LBB27_193:
	s_or_b32 exec_lo, exec_lo, s15
	v_add_min_u32_e64 v2, 0x80000001, v10, v10
	s_delay_alu instid0(VALU_DEP_1)
	v_add_min_u32_e64 v3, 0x80000001, v2, v2
.LBB27_194:
	s_or_b32 exec_lo, exec_lo, s14
	v_mov_b32_e32 v2, 0
	s_movk_i32 s3, 0x1388
	s_brev_b32 s2, 12
.LBB27_195:                             ; =>This Inner Loop Header: Depth=1
	v_mul_hi_u32 v4, 0xbc8f1391, v3
	s_delay_alu instid0(VALU_DEP_1) | instskip(NEXT) | instid1(VALU_DEP_1)
	v_lshrrev_b32_e32 v4, 15, v4
	v_mul_u32_u24_e32 v5, 0xadc8, v4
	s_delay_alu instid0(VALU_DEP_1) | instskip(SKIP_1) | instid1(VALU_DEP_2)
	v_sub_nc_u32_e32 v3, v3, v5
	v_mul_u32_u24_e32 v4, 0xd47, v4
	v_mul_lo_u32 v3, 0xbc8f, v3
	s_delay_alu instid0(VALU_DEP_2) | instskip(SKIP_1) | instid1(VALU_DEP_3)
	v_xor_b32_e32 v5, 0x7fffffff, v4
	v_sub_nc_u32_e32 v10, 0, v4
	v_cmp_lt_u32_e32 vcc_lo, v3, v4
	s_delay_alu instid0(VALU_DEP_2) | instskip(NEXT) | instid1(VALU_DEP_1)
	v_cndmask_b32_e32 v4, v10, v5, vcc_lo
	v_add_nc_u32_e32 v3, v4, v3
	s_delay_alu instid0(VALU_DEP_1) | instskip(NEXT) | instid1(VALU_DEP_1)
	v_mul_hi_u32 v4, 0xbc8f1391, v3
	v_lshrrev_b32_e32 v4, 15, v4
	s_delay_alu instid0(VALU_DEP_1) | instskip(SKIP_1) | instid1(VALU_DEP_2)
	v_mul_u32_u24_e32 v5, 0xadc8, v4
	v_mul_u32_u24_e32 v4, 0xd47, v4
	v_sub_nc_u32_e32 v5, v3, v5
	s_delay_alu instid0(VALU_DEP_2) | instskip(SKIP_1) | instid1(VALU_DEP_3)
	v_xor_b32_e32 v10, 0x7fffffff, v4
	v_add_nc_u32_e32 v3, -1, v3
	v_mul_lo_u32 v5, 0xbc8f, v5
	v_sub_nc_u32_e32 v11, 0, v4
	s_delay_alu instid0(VALU_DEP_2) | instskip(NEXT) | instid1(VALU_DEP_2)
	v_cmp_lt_u32_e32 vcc_lo, v5, v4
	v_cndmask_b32_e32 v4, v11, v10, vcc_lo
	s_delay_alu instid0(VALU_DEP_1) | instskip(NEXT) | instid1(VALU_DEP_1)
	v_add_nc_u32_e32 v5, v4, v5
	v_mul_hi_u32 v4, 0xbc8f1391, v5
	s_delay_alu instid0(VALU_DEP_1) | instskip(NEXT) | instid1(VALU_DEP_1)
	v_lshrrev_b32_e32 v4, 15, v4
	v_mul_u32_u24_e32 v10, 0xadc8, v4
	v_mul_u32_u24_e32 v4, 0xd47, v4
	s_delay_alu instid0(VALU_DEP_2) | instskip(NEXT) | instid1(VALU_DEP_2)
	v_sub_nc_u32_e32 v10, v5, v10
	v_xor_b32_e32 v11, 0x7fffffff, v4
	s_delay_alu instid0(VALU_DEP_2) | instskip(SKIP_1) | instid1(VALU_DEP_2)
	v_mul_lo_u32 v10, 0xbc8f, v10
	v_sub_nc_u32_e32 v13, 0, v4
	v_cmp_lt_u32_e32 vcc_lo, v10, v4
	s_delay_alu instid0(VALU_DEP_2) | instskip(NEXT) | instid1(VALU_DEP_1)
	v_dual_cndmask_b32 v4, v13, v11 :: v_dual_add_f32 v13, 1.0, v2
	v_add_nc_u32_e32 v10, v4, v10
	s_delay_alu instid0(VALU_DEP_1) | instskip(NEXT) | instid1(VALU_DEP_1)
	v_mul_hi_u32 v4, 0xbc8f1391, v10
	v_lshrrev_b32_e32 v4, 15, v4
	s_delay_alu instid0(VALU_DEP_1) | instskip(SKIP_2) | instid1(VALU_DEP_3)
	v_mul_u32_u24_e32 v11, 0xadc8, v4
	v_mul_u32_u24_e32 v17, 0xd47, v4
	v_cvt_f32_u32_e32 v4, v3
	v_sub_nc_u32_e32 v11, v10, v11
	s_delay_alu instid0(VALU_DEP_3) | instskip(SKIP_1) | instid1(VALU_DEP_3)
	v_xor_b32_e32 v3, 0x7fffffff, v17
	v_dual_sub_nc_u32 v18, 0, v17 :: v_dual_add_nc_u32 v10, -1, v10
	v_mul_lo_u32 v11, 0xbc8f, v11
	s_delay_alu instid0(VALU_DEP_2) | instskip(NEXT) | instid1(VALU_DEP_2)
	v_cvt_f32_u32_e32 v10, v10
	v_cmp_lt_u32_e32 vcc_lo, v11, v17
	s_delay_alu instid0(VALU_DEP_4) | instskip(NEXT) | instid1(VALU_DEP_1)
	v_dual_add_nc_u32 v5, -1, v5 :: v_dual_cndmask_b32 v3, v18, v3, vcc_lo
	v_cvt_f32_u32_e32 v5, v5
	s_delay_alu instid0(VALU_DEP_2) | instskip(NEXT) | instid1(VALU_DEP_2)
	v_add_nc_u32_e32 v3, v3, v11
	v_pk_fma_f32 v[4:5], v[4:5], s[2:3], 0 op_sel_hi:[1,0,0]
	s_delay_alu instid0(VALU_DEP_1) | instskip(NEXT) | instid1(VALU_DEP_1)
	v_pk_mul_f32 v[4:5], v[4:5], v[4:5]
	v_dual_add_nc_u32 v11, -1, v3 :: v_dual_add_f32 v17, v4, v5
	s_delay_alu instid0(VALU_DEP_1) | instskip(NEXT) | instid1(VALU_DEP_2)
	v_cvt_f32_u32_e32 v11, v11
	v_cmp_gt_f32_e32 vcc_lo, 0xf800000, v17
	s_delay_alu instid0(VALU_DEP_2) | instskip(SKIP_1) | instid1(SALU_CYCLE_1)
	v_pk_fma_f32 v[4:5], v[10:11], s[2:3], 0 op_sel_hi:[1,0,0]
	s_add_co_i32 s3, s3, -2
	s_cmp_lg_u32 s3, 0
	s_delay_alu instid0(VALU_DEP_1) | instskip(NEXT) | instid1(VALU_DEP_1)
	v_pk_mul_f32 v[4:5], v[4:5], v[4:5]
	v_add_f32_e32 v4, v4, v5
	s_delay_alu instid0(VALU_DEP_1) | instskip(NEXT) | instid1(VALU_DEP_1)
	v_dual_mul_f32 v10, 0x4f800000, v17 :: v_dual_mul_f32 v11, 0x4f800000, v4
	v_cndmask_b32_e32 v10, v17, v10, vcc_lo
	v_cmp_gt_f32_e64 s0, 0xf800000, v4
	s_delay_alu instid0(VALU_DEP_2) | instskip(SKIP_1) | instid1(TRANS32_DEP_1)
	v_sqrt_f32_e32 v5, v10
	v_nop
	v_dual_add_nc_u32 v17, -1, v5 :: v_dual_cndmask_b32 v4, v4, v11, s0
	s_delay_alu instid0(VALU_DEP_1) | instskip(NEXT) | instid1(VALU_DEP_2)
	v_dual_add_nc_u32 v11, 1, v5 :: v_dual_fma_f32 v18, -v17, v5, v10
	v_sqrt_f32_e32 v19, v4
	s_delay_alu instid0(VALU_DEP_1) | instskip(NEXT) | instid1(VALU_DEP_2)
	v_fma_f32 v20, -v11, v5, v10
	v_cmp_ge_f32_e64 s1, 0, v18
	s_delay_alu instid0(TRANS32_DEP_1) | instid1(VALU_DEP_1)
	v_dual_cndmask_b32 v5, v5, v17, s1 :: v_dual_add_nc_u32 v17, -1, v19
	s_delay_alu instid0(VALU_DEP_3) | instskip(NEXT) | instid1(VALU_DEP_1)
	v_cmp_lt_f32_e64 s1, 0, v20
	v_cndmask_b32_e64 v5, v5, v11, s1
	s_delay_alu instid0(VALU_DEP_3) | instskip(NEXT) | instid1(VALU_DEP_1)
	v_dual_add_nc_u32 v11, 1, v19 :: v_dual_fma_f32 v18, -v17, v19, v4
	v_fma_f32 v21, -v11, v19, v4
	s_delay_alu instid0(VALU_DEP_2) | instskip(NEXT) | instid1(VALU_DEP_1)
	v_cmp_ge_f32_e64 s1, 0, v18
	v_cndmask_b32_e64 v17, v19, v17, s1
	v_mul_f32_e32 v20, 0x37800000, v5
	s_delay_alu instid0(VALU_DEP_4) | instskip(NEXT) | instid1(VALU_DEP_1)
	v_cmp_lt_f32_e64 s1, 0, v21
	v_cndmask_b32_e64 v11, v17, v11, s1
	s_delay_alu instid0(VALU_DEP_3) | instskip(SKIP_1) | instid1(VALU_DEP_2)
	v_cndmask_b32_e32 v5, v5, v20, vcc_lo
	v_cmp_class_f32_e64 vcc_lo, v10, 0x260
	v_dual_cndmask_b32 v5, v5, v10 :: v_dual_mul_f32 v10, 0x37800000, v11
	s_delay_alu instid0(VALU_DEP_1) | instskip(NEXT) | instid1(VALU_DEP_2)
	v_cmp_nge_f32_e32 vcc_lo, 1.0, v5
	v_cndmask_b32_e64 v5, v11, v10, s0
	v_cndmask_b32_e32 v2, v13, v2, vcc_lo
	v_cmp_class_f32_e64 vcc_lo, v4, 0x260
	s_delay_alu instid0(VALU_DEP_1) | instskip(NEXT) | instid1(VALU_DEP_1)
	v_dual_add_f32 v10, 1.0, v2 :: v_dual_cndmask_b32 v4, v5, v4, vcc_lo
	v_cmp_nge_f32_e32 vcc_lo, 1.0, v4
	s_delay_alu instid0(VALU_DEP_2)
	v_cndmask_b32_e32 v2, v10, v2, vcc_lo
	s_cbranch_scc1 .LBB27_195
; %bb.196:
	v_dual_mul_f32 v3, 4.0, v12 :: v_dual_mul_f32 v4, 4.0, v15
	s_delay_alu instid0(VALU_DEP_1) | instskip(NEXT) | instid1(VALU_DEP_2)
	v_div_scale_f32 v10, null, 0x459c4000, 0x459c4000, v3
	v_div_scale_f32 v11, null, 0x459c4000, 0x459c4000, v4
	v_div_scale_f32 v17, vcc_lo, v3, 0x459c4000, v3
	s_delay_alu instid0(VALU_DEP_3) | instskip(SKIP_1) | instid1(TRANS32_DEP_1)
	v_rcp_f32_e32 v13, v10
	v_nop
	v_fma_f32 v18, -v10, v13, 1.0
	v_mul_f32_e32 v5, 4.0, v14
	v_rcp_f32_e32 v14, v11
	s_delay_alu instid0(VALU_DEP_2) | instskip(NEXT) | instid1(VALU_DEP_2)
	v_fmac_f32_e32 v13, v18, v13
	v_div_scale_f32 v12, null, 0x459c4000, 0x459c4000, v5
	v_div_scale_f32 v18, s0, v4, 0x459c4000, v4
	s_delay_alu instid0(TRANS32_DEP_1) | instskip(NEXT) | instid1(VALU_DEP_3)
	v_fma_f32 v19, -v11, v14, 1.0
	v_rcp_f32_e32 v15, v12
	s_delay_alu instid0(VALU_DEP_1) | instskip(NEXT) | instid1(TRANS32_DEP_1)
	v_dual_mul_f32 v22, v17, v13 :: v_dual_fmac_f32 v14, v19, v14
	v_fma_f32 v21, -v12, v15, 1.0
	s_delay_alu instid0(VALU_DEP_1) | instskip(NEXT) | instid1(VALU_DEP_1)
	v_dual_mul_f32 v2, 4.0, v2 :: v_dual_fmac_f32 v15, v21, v15
	v_div_scale_f32 v20, null, 0x459c4000, 0x459c4000, v2
	v_div_scale_f32 v21, s1, v5, 0x459c4000, v5
	v_mul_f32_e32 v23, v18, v14
	s_delay_alu instid0(VALU_DEP_3) | instskip(NEXT) | instid1(VALU_DEP_2)
	v_rcp_f32_e32 v19, v20
	v_dual_mul_f32 v24, v21, v15 :: v_dual_fma_f32 v26, -v10, v22, v17
	s_delay_alu instid0(VALU_DEP_2) | instskip(NEXT) | instid1(TRANS32_DEP_1)
	v_fma_f32 v27, -v11, v23, v18
	v_fma_f32 v25, -v20, v19, 1.0
	s_delay_alu instid0(VALU_DEP_3) | instskip(NEXT) | instid1(VALU_DEP_3)
	v_dual_fma_f32 v28, -v12, v24, v21 :: v_dual_fmac_f32 v22, v26, v13
	v_fmac_f32_e32 v23, v27, v14
	s_delay_alu instid0(VALU_DEP_3) | instskip(SKIP_1) | instid1(VALU_DEP_4)
	v_fmac_f32_e32 v19, v25, v19
	v_div_scale_f32 v25, s2, v2, 0x459c4000, v2
	v_dual_fmac_f32 v24, v28, v15 :: v_dual_fma_f32 v10, -v10, v22, v17
	s_delay_alu instid0(VALU_DEP_1) | instskip(SKIP_1) | instid1(VALU_DEP_3)
	v_dual_mul_f32 v26, v25, v19 :: v_dual_fma_f32 v12, -v12, v24, v21
	v_fma_f32 v11, -v11, v23, v18
	v_div_fmas_f32 v10, v10, v13, v22
	s_mov_b32 vcc_lo, s0
	s_delay_alu instid0(VALU_DEP_3)
	v_fma_f32 v17, -v20, v26, v25
	s_mov_b32 s0, exec_lo
	v_div_fmas_f32 v11, v11, v14, v23
	s_mov_b32 vcc_lo, s1
	v_div_fixup_f32 v3, v10, 0x459c4000, v3
	v_div_fmas_f32 v12, v12, v15, v24
	s_mov_b32 vcc_lo, s2
	v_div_fixup_f32 v4, v11, 0x459c4000, v4
	s_delay_alu instid0(VALU_DEP_2) | instskip(NEXT) | instid1(VALU_DEP_1)
	v_div_fixup_f32 v5, v12, 0x459c4000, v5
	v_add_f32_e32 v4, v5, v4
	s_delay_alu instid0(VALU_DEP_1) | instskip(SKIP_1) | instid1(VALU_DEP_1)
	v_add_f32_e32 v3, v4, v3
	v_fmac_f32_e32 v26, v17, v19
	v_fma_f32 v13, -v20, v26, v25
	s_delay_alu instid0(VALU_DEP_1) | instskip(NEXT) | instid1(VALU_DEP_1)
	v_div_fmas_f32 v10, v13, v19, v26
	v_div_fixup_f32 v2, v10, 0x459c4000, v2
	s_delay_alu instid0(VALU_DEP_1) | instskip(NEXT) | instid1(VALU_DEP_1)
	v_add_f32_e32 v2, v3, v2
	v_mov_b32_dpp v3, v2 quad_perm:[1,0,3,2] row_mask:0xf bank_mask:0xf
	s_delay_alu instid0(VALU_DEP_1) | instskip(NEXT) | instid1(VALU_DEP_1)
	v_add_f32_e32 v2, v2, v3
	v_mov_b32_dpp v3, v2 quad_perm:[2,3,0,1] row_mask:0xf bank_mask:0xf
	s_delay_alu instid0(VALU_DEP_1) | instskip(NEXT) | instid1(VALU_DEP_1)
	v_add_f32_e32 v2, v2, v3
	v_mov_b32_dpp v3, v2 row_ror:4 row_mask:0xf bank_mask:0xf
	s_delay_alu instid0(VALU_DEP_1) | instskip(NEXT) | instid1(VALU_DEP_1)
	v_add_f32_e32 v2, v2, v3
	v_mov_b32_dpp v3, v2 row_ror:8 row_mask:0xf bank_mask:0xf
	s_delay_alu instid0(VALU_DEP_1)
	v_add_f32_e32 v2, v2, v3
	ds_swizzle_b32 v3, v2 offset:swizzle(BROADCAST,32,15)
	s_wait_dscnt 0x0
	v_dual_add_f32 v2, v2, v3 :: v_dual_mov_b32 v3, 0
	ds_bpermute_b32 v3, v3, v2 offset:124
	v_mbcnt_lo_u32_b32 v2, -1, 0
	s_delay_alu instid0(VALU_DEP_1)
	v_cmpx_eq_u32_e32 0, v2
	s_cbranch_execz .LBB27_198
; %bb.197:
	v_lshrrev_b32_e32 v4, 3, v50
	s_delay_alu instid0(VALU_DEP_1)
	v_and_b32_e32 v4, 0x7c, v4
	s_wait_dscnt 0x0
	ds_store_b32 v4, v3 offset:128
.LBB27_198:
	s_or_b32 exec_lo, exec_lo, s0
	s_delay_alu instid0(SALU_CYCLE_1)
	s_mov_b32 s0, exec_lo
	s_wait_storecnt 0x0
	s_wait_loadcnt_dscnt 0x0
	s_barrier_signal -1
	s_barrier_wait -1
	v_cmpx_gt_u32_e32 32, v50
	s_cbranch_execz .LBB27_200
; %bb.199:
	v_and_b32_e32 v3, 7, v2
	s_delay_alu instid0(VALU_DEP_1) | instskip(SKIP_1) | instid1(VALU_DEP_1)
	v_cmp_ne_u32_e32 vcc_lo, 7, v3
	v_add_co_ci_u32_e64 v5, null, 0, v2, vcc_lo
	v_lshlrev_b32_e32 v5, 2, v5
	v_cmp_gt_u32_e32 vcc_lo, 6, v3
	v_lshlrev_b32_e32 v4, 2, v3
	v_cndmask_b32_e64 v3, 0, 2, vcc_lo
	s_delay_alu instid0(VALU_DEP_1)
	v_add_lshl_u32 v3, v3, v2, 2
	v_lshlrev_b32_e32 v2, 2, v2
	ds_load_b32 v4, v4 offset:128
	v_or_b32_e32 v2, 16, v2
	s_wait_dscnt 0x0
	ds_bpermute_b32 v5, v5, v4
	s_wait_dscnt 0x0
	v_add_f32_e32 v4, v4, v5
	ds_bpermute_b32 v3, v3, v4
	s_wait_dscnt 0x0
	v_add_f32_e32 v3, v4, v3
	;; [unrolled: 3-line block ×3, first 2 shown]
.LBB27_200:
	s_or_b32 exec_lo, exec_lo, s0
                                        ; implicit-def: $vgpr18
	s_and_not1_saveexec_b32 s17, s13
	s_cbranch_execz .LBB27_13
.LBB27_201:
	v_mov_b32_e32 v2, 0
	v_subrev_nc_u32_e32 v17, s12, v6
	s_mov_b32 s12, exec_lo
	s_delay_alu instid0(VALU_DEP_2) | instskip(SKIP_1) | instid1(VALU_DEP_3)
	v_dual_mov_b32 v5, v2 :: v_dual_mov_b32 v4, v2
	v_mov_b32_e32 v3, v2
	v_cmpx_lt_u32_e64 v50, v17
	s_cbranch_execz .LBB27_624
; %bb.202:
	v_dual_mov_b32 v3, 1 :: v_dual_add_nc_u32 v2, v18, v50
	s_mov_b32 s13, exec_lo
	s_delay_alu instid0(VALU_DEP_1) | instskip(NEXT) | instid1(VALU_DEP_1)
	v_mul_lo_u32 v2, 0x1388, v2
	v_cmpx_ne_u32_e32 0, v2
	s_cbranch_execz .LBB27_621
; %bb.203:
	v_mov_b32_e32 v3, 0
	v_mov_b64_e32 v[10:11], 1
	s_mov_b64 s[10:11], 0xbc8f
	s_mov_b64 s[0:1], 0xfffffffd
	;; [unrolled: 1-line block ×3, first 2 shown]
	v_mov_b64_e32 v[4:5], v[2:3]
	s_mov_b64 s[4:5], 0x80000001
	s_mov_b32 s9, 0
	s_mov_b32 s14, 0
	s_branch .LBB27_205
.LBB27_204:                             ;   in Loop: Header=BB27_205 Depth=1
	s_or_b32 exec_lo, exec_lo, s8
	s_mul_u64 s[10:11], s[10:11], s[10:11]
	s_mov_b32 s19, s9
	s_and_b64 s[20:21], s[10:11], s[0:1]
	s_mov_b32 s8, s11
	s_mul_u64 s[22:23], s[20:21], 3
	s_mul_u64 s[24:25], s[8:9], 3
	s_mov_b32 s18, s23
	s_mul_u64 s[20:21], s[20:21], s[4:5]
	s_add_nc_u64 s[18:19], s[24:25], s[18:19]
	v_lshrrev_b64 v[12:13], 1, v[4:5]
	s_and_b64 s[24:25], s[18:19], s[2:3]
	s_mov_b32 s23, s9
	s_add_nc_u64 s[20:21], s[20:21], s[24:25]
	s_mov_b32 s27, s9
	s_mov_b32 s22, s19
	;; [unrolled: 1-line block ×3, first 2 shown]
	s_mul_u64 s[20:21], s[8:9], s[4:5]
	s_add_nc_u64 s[18:19], s[22:23], s[26:27]
	v_cmp_gt_u64_e32 vcc_lo, 2, v[4:5]
	s_add_nc_u64 s[18:19], s[20:21], s[18:19]
	v_mov_b64_e32 v[4:5], v[12:13]
	s_lshr_b64 s[18:19], s[18:19], 30
	s_delay_alu instid0(SALU_CYCLE_1)
	s_mul_u64 s[18:19], s[18:19], 0x7fffffff
	s_or_b32 s14, vcc_lo, s14
	s_sub_nc_u64 s[10:11], s[10:11], s[18:19]
	s_and_not1_b32 exec_lo, exec_lo, s14
	s_cbranch_execz .LBB27_620
.LBB27_205:                             ; =>This Inner Loop Header: Depth=1
	s_delay_alu instid0(VALU_DEP_1) | instskip(SKIP_1) | instid1(VALU_DEP_1)
	v_and_b32_e32 v2, 1, v4
	s_mov_b32 s8, exec_lo
	v_cmpx_eq_u32_e32 1, v2
	s_cbranch_execz .LBB27_204
; %bb.206:                              ;   in Loop: Header=BB27_205 Depth=1
	v_mul_u64_e32 v[10:11], s[10:11], v[10:11]
	s_delay_alu instid0(VALU_DEP_1) | instskip(NEXT) | instid1(VALU_DEP_1)
	v_mov_b32_e32 v2, v10
	v_mul_u64_e32 v[12:13], 5, v[2:3]
	s_delay_alu instid0(VALU_DEP_1) | instskip(NEXT) | instid1(VALU_DEP_1)
	v_mov_b32_e32 v2, v13
	v_mad_nc_u64_u32 v[12:13], v11, 5, v[2:3]
	s_delay_alu instid0(VALU_DEP_1) | instskip(NEXT) | instid1(VALU_DEP_1)
	v_dual_mov_b32 v2, v13 :: v_dual_mov_b32 v13, v3
	v_mad_nc_u64_u32 v[12:13], v10, 2, v[12:13]
	s_delay_alu instid0(VALU_DEP_1) | instskip(NEXT) | instid1(VALU_DEP_1)
	v_dual_mov_b32 v12, v13 :: v_dual_mov_b32 v13, v3
	v_add_nc_u64_e32 v[12:13], v[2:3], v[12:13]
	s_delay_alu instid0(VALU_DEP_1) | instskip(NEXT) | instid1(VALU_DEP_1)
	v_mad_nc_u64_u32 v[12:13], v11, 2, v[12:13]
	v_sub_nc_u64_e32 v[14:15], v[10:11], v[12:13]
	s_delay_alu instid0(VALU_DEP_1) | instskip(NEXT) | instid1(VALU_DEP_1)
	v_lshrrev_b64 v[14:15], 1, v[14:15]
	v_add_nc_u64_e32 v[12:13], v[14:15], v[12:13]
	s_delay_alu instid0(VALU_DEP_1) | instskip(NEXT) | instid1(VALU_DEP_1)
	v_lshrrev_b64 v[12:13], 30, v[12:13]
	v_mul_u64_e32 v[12:13], 0x7fffffff, v[12:13]
	s_delay_alu instid0(VALU_DEP_1)
	v_sub_nc_u64_e32 v[10:11], v[10:11], v[12:13]
	s_branch .LBB27_204
.LBB27_207:
	s_or_b32 exec_lo, exec_lo, s15
	v_add_min_u32_e64 v3, 0x80000001, v8, v8
	s_delay_alu instid0(VALU_DEP_1)
	v_add_min_u32_e64 v3, 0x80000001, v3, v3
.LBB27_208:
	s_or_b32 exec_lo, exec_lo, s14
	v_mov_b32_e32 v17, 0
	s_movk_i32 s3, 0x1388
	s_brev_b32 s2, 12
.LBB27_209:                             ; =>This Inner Loop Header: Depth=1
	v_mul_hi_u32 v4, 0xbc8f1391, v3
	s_delay_alu instid0(VALU_DEP_1) | instskip(NEXT) | instid1(VALU_DEP_1)
	v_lshrrev_b32_e32 v4, 15, v4
	v_mul_u32_u24_e32 v5, 0xadc8, v4
	s_delay_alu instid0(VALU_DEP_1) | instskip(SKIP_1) | instid1(VALU_DEP_2)
	v_sub_nc_u32_e32 v3, v3, v5
	v_mul_u32_u24_e32 v4, 0xd47, v4
	v_mul_lo_u32 v3, 0xbc8f, v3
	s_delay_alu instid0(VALU_DEP_2) | instskip(SKIP_1) | instid1(VALU_DEP_3)
	v_xor_b32_e32 v5, 0x7fffffff, v4
	v_sub_nc_u32_e32 v6, 0, v4
	v_cmp_lt_u32_e32 vcc_lo, v3, v4
	s_delay_alu instid0(VALU_DEP_2) | instskip(NEXT) | instid1(VALU_DEP_1)
	v_cndmask_b32_e32 v4, v6, v5, vcc_lo
	v_add_nc_u32_e32 v3, v4, v3
	s_delay_alu instid0(VALU_DEP_1) | instskip(NEXT) | instid1(VALU_DEP_1)
	v_mul_hi_u32 v4, 0xbc8f1391, v3
	v_lshrrev_b32_e32 v4, 15, v4
	s_delay_alu instid0(VALU_DEP_1) | instskip(SKIP_1) | instid1(VALU_DEP_2)
	v_mul_u32_u24_e32 v5, 0xadc8, v4
	v_mul_u32_u24_e32 v4, 0xd47, v4
	v_sub_nc_u32_e32 v5, v3, v5
	s_delay_alu instid0(VALU_DEP_2) | instskip(SKIP_1) | instid1(VALU_DEP_3)
	v_xor_b32_e32 v6, 0x7fffffff, v4
	v_add_nc_u32_e32 v3, -1, v3
	v_mul_lo_u32 v5, 0xbc8f, v5
	v_sub_nc_u32_e32 v7, 0, v4
	s_delay_alu instid0(VALU_DEP_2) | instskip(NEXT) | instid1(VALU_DEP_2)
	v_cmp_lt_u32_e32 vcc_lo, v5, v4
	v_cndmask_b32_e32 v4, v7, v6, vcc_lo
	s_delay_alu instid0(VALU_DEP_1) | instskip(NEXT) | instid1(VALU_DEP_1)
	v_add_nc_u32_e32 v5, v4, v5
	v_mul_hi_u32 v4, 0xbc8f1391, v5
	s_delay_alu instid0(VALU_DEP_1) | instskip(NEXT) | instid1(VALU_DEP_1)
	v_lshrrev_b32_e32 v4, 15, v4
	v_mul_u32_u24_e32 v6, 0xadc8, v4
	v_mul_u32_u24_e32 v4, 0xd47, v4
	s_delay_alu instid0(VALU_DEP_2) | instskip(NEXT) | instid1(VALU_DEP_2)
	v_sub_nc_u32_e32 v6, v5, v6
	v_xor_b32_e32 v7, 0x7fffffff, v4
	s_delay_alu instid0(VALU_DEP_2) | instskip(SKIP_1) | instid1(VALU_DEP_2)
	v_mul_lo_u32 v6, 0xbc8f, v6
	v_sub_nc_u32_e32 v8, 0, v4
	v_cmp_lt_u32_e32 vcc_lo, v6, v4
	s_delay_alu instid0(VALU_DEP_2) | instskip(NEXT) | instid1(VALU_DEP_1)
	v_dual_cndmask_b32 v4, v8, v7, vcc_lo :: v_dual_add_f32 v8, 1.0, v17
	v_add_nc_u32_e32 v6, v4, v6
	s_delay_alu instid0(VALU_DEP_1) | instskip(NEXT) | instid1(VALU_DEP_1)
	v_mul_hi_u32 v4, 0xbc8f1391, v6
	v_lshrrev_b32_e32 v4, 15, v4
	s_delay_alu instid0(VALU_DEP_1) | instskip(SKIP_2) | instid1(VALU_DEP_3)
	v_mul_u32_u24_e32 v7, 0xadc8, v4
	v_mul_u32_u24_e32 v9, 0xd47, v4
	v_cvt_f32_u32_e32 v4, v3
	v_sub_nc_u32_e32 v7, v6, v7
	s_delay_alu instid0(VALU_DEP_3) | instskip(SKIP_1) | instid1(VALU_DEP_3)
	v_xor_b32_e32 v3, 0x7fffffff, v9
	v_dual_sub_nc_u32 v18, 0, v9 :: v_dual_add_nc_u32 v6, -1, v6
	v_mul_lo_u32 v7, 0xbc8f, v7
	s_delay_alu instid0(VALU_DEP_2) | instskip(NEXT) | instid1(VALU_DEP_2)
	v_cvt_f32_u32_e32 v6, v6
	v_cmp_lt_u32_e32 vcc_lo, v7, v9
	s_delay_alu instid0(VALU_DEP_4) | instskip(NEXT) | instid1(VALU_DEP_1)
	v_dual_add_nc_u32 v5, -1, v5 :: v_dual_cndmask_b32 v3, v18, v3, vcc_lo
	v_cvt_f32_u32_e32 v5, v5
	s_delay_alu instid0(VALU_DEP_2) | instskip(NEXT) | instid1(VALU_DEP_2)
	v_add_nc_u32_e32 v3, v3, v7
	v_pk_fma_f32 v[4:5], v[4:5], s[2:3], 0 op_sel_hi:[1,0,0]
	s_delay_alu instid0(VALU_DEP_1) | instskip(NEXT) | instid1(VALU_DEP_1)
	v_pk_mul_f32 v[4:5], v[4:5], v[4:5]
	v_dual_add_nc_u32 v7, -1, v3 :: v_dual_add_f32 v9, v4, v5
	s_delay_alu instid0(VALU_DEP_1) | instskip(NEXT) | instid1(VALU_DEP_2)
	v_cvt_f32_u32_e32 v7, v7
	v_cmp_gt_f32_e32 vcc_lo, 0xf800000, v9
	s_delay_alu instid0(VALU_DEP_2) | instskip(SKIP_1) | instid1(SALU_CYCLE_1)
	v_pk_fma_f32 v[4:5], v[6:7], s[2:3], 0 op_sel_hi:[1,0,0]
	s_add_co_i32 s3, s3, -2
	s_cmp_lg_u32 s3, 0
	s_delay_alu instid0(VALU_DEP_1) | instskip(NEXT) | instid1(VALU_DEP_1)
	v_pk_mul_f32 v[4:5], v[4:5], v[4:5]
	v_add_f32_e32 v4, v4, v5
	s_delay_alu instid0(VALU_DEP_1) | instskip(NEXT) | instid1(VALU_DEP_1)
	v_dual_mul_f32 v6, 0x4f800000, v9 :: v_dual_mul_f32 v7, 0x4f800000, v4
	v_cndmask_b32_e32 v6, v9, v6, vcc_lo
	v_cmp_gt_f32_e64 s0, 0xf800000, v4
	s_delay_alu instid0(VALU_DEP_2) | instskip(SKIP_1) | instid1(TRANS32_DEP_1)
	v_sqrt_f32_e32 v5, v6
	v_nop
	v_dual_add_nc_u32 v9, -1, v5 :: v_dual_cndmask_b32 v4, v4, v7, s0
	s_delay_alu instid0(VALU_DEP_1) | instskip(NEXT) | instid1(VALU_DEP_2)
	v_dual_add_nc_u32 v7, 1, v5 :: v_dual_fma_f32 v18, -v9, v5, v6
	v_sqrt_f32_e32 v19, v4
	s_delay_alu instid0(VALU_DEP_1) | instskip(NEXT) | instid1(VALU_DEP_2)
	v_fma_f32 v21, -v7, v5, v6
	v_cmp_ge_f32_e64 s1, 0, v18
	s_delay_alu instid0(TRANS32_DEP_1) | instid1(VALU_DEP_1)
	v_dual_cndmask_b32 v5, v5, v9, s1 :: v_dual_add_nc_u32 v9, -1, v19
	s_delay_alu instid0(VALU_DEP_3) | instskip(NEXT) | instid1(VALU_DEP_1)
	v_cmp_lt_f32_e64 s1, 0, v21
	v_cndmask_b32_e64 v5, v5, v7, s1
	s_delay_alu instid0(VALU_DEP_3) | instskip(NEXT) | instid1(VALU_DEP_1)
	v_dual_add_nc_u32 v7, 1, v19 :: v_dual_fma_f32 v18, -v9, v19, v4
	v_fma_f32 v22, -v7, v19, v4
	s_delay_alu instid0(VALU_DEP_2) | instskip(NEXT) | instid1(VALU_DEP_1)
	v_cmp_ge_f32_e64 s1, 0, v18
	v_cndmask_b32_e64 v9, v19, v9, s1
	s_delay_alu instid0(VALU_DEP_3) | instskip(NEXT) | instid1(VALU_DEP_1)
	v_cmp_lt_f32_e64 s1, 0, v22
	v_cndmask_b32_e64 v7, v9, v7, s1
	v_mul_f32_e32 v21, 0x37800000, v5
	s_delay_alu instid0(VALU_DEP_1) | instskip(SKIP_1) | instid1(VALU_DEP_2)
	v_cndmask_b32_e32 v5, v5, v21, vcc_lo
	v_cmp_class_f32_e64 vcc_lo, v6, 0x260
	v_cndmask_b32_e32 v5, v5, v6, vcc_lo
	s_delay_alu instid0(VALU_DEP_1) | instskip(SKIP_2) | instid1(VALU_DEP_2)
	v_cmp_nge_f32_e32 vcc_lo, 1.0, v5
	v_dual_cndmask_b32 v5, v8, v17 :: v_dual_mul_f32 v6, 0x37800000, v7
	v_cmp_class_f32_e64 vcc_lo, v4, 0x260
	v_dual_cndmask_b32 v6, v7, v6, s0 :: v_dual_add_f32 v7, 1.0, v5
	s_delay_alu instid0(VALU_DEP_1) | instskip(NEXT) | instid1(VALU_DEP_1)
	v_cndmask_b32_e32 v4, v6, v4, vcc_lo
	v_cmp_nge_f32_e32 vcc_lo, 1.0, v4
	s_delay_alu instid0(VALU_DEP_3)
	v_cndmask_b32_e32 v17, v7, v5, vcc_lo
	s_cbranch_scc1 .LBB27_209
; %bb.210:
	v_dual_mov_b32 v3, 1 :: v_dual_add_nc_u32 v4, 0x4e2000, v2
	s_mov_b32 s1, 0
	s_mov_b32 s14, exec_lo
	s_delay_alu instid0(VALU_DEP_1)
	v_cmpx_ne_u32_e32 0, v4
	s_cbranch_execz .LBB27_232
; %bb.211:
	v_mov_b32_e32 v5, 0
	v_mov_b64_e32 v[8:9], 1
	s_mov_b64 s[8:9], 0xbc8f
	s_mov_b64 s[2:3], 0xfffffffd
	;; [unrolled: 1-line block ×3, first 2 shown]
	v_mov_b64_e32 v[6:7], v[4:5]
	s_mov_b64 s[6:7], 0x80000001
	s_mov_b32 s15, 0
	s_branch .LBB27_213
.LBB27_212:                             ;   in Loop: Header=BB27_213 Depth=1
	s_or_b32 exec_lo, exec_lo, s0
	s_mul_u64 s[8:9], s[8:9], s[8:9]
	s_mov_b32 s17, s1
	s_and_b64 s[18:19], s[8:9], s[2:3]
	s_mov_b32 s0, s9
	s_mul_u64 s[22:23], s[18:19], 3
	s_mul_u64 s[24:25], s[0:1], 3
	s_mov_b32 s16, s23
	s_mul_u64 s[18:19], s[18:19], s[6:7]
	s_add_nc_u64 s[16:17], s[24:25], s[16:17]
	v_lshrrev_b64 v[18:19], 1, v[6:7]
	s_and_b64 s[24:25], s[16:17], s[4:5]
	s_mov_b32 s23, s1
	s_add_nc_u64 s[18:19], s[18:19], s[24:25]
	s_mov_b32 s27, s1
	s_mov_b32 s22, s17
	;; [unrolled: 1-line block ×3, first 2 shown]
	s_mul_u64 s[18:19], s[0:1], s[6:7]
	s_add_nc_u64 s[16:17], s[22:23], s[26:27]
	v_cmp_gt_u64_e32 vcc_lo, 2, v[6:7]
	s_add_nc_u64 s[16:17], s[18:19], s[16:17]
	v_mov_b64_e32 v[6:7], v[18:19]
	s_lshr_b64 s[16:17], s[16:17], 30
	s_delay_alu instid0(SALU_CYCLE_1)
	s_mul_u64 s[16:17], s[16:17], 0x7fffffff
	s_or_b32 s15, vcc_lo, s15
	s_sub_nc_u64 s[8:9], s[8:9], s[16:17]
	s_and_not1_b32 exec_lo, exec_lo, s15
	s_cbranch_execz .LBB27_231
.LBB27_213:                             ; =>This Inner Loop Header: Depth=1
	s_delay_alu instid0(VALU_DEP_1) | instskip(SKIP_1) | instid1(VALU_DEP_1)
	v_and_b32_e32 v3, 1, v6
	s_mov_b32 s0, exec_lo
	v_cmpx_eq_u32_e32 1, v3
	s_cbranch_execz .LBB27_212
; %bb.214:                              ;   in Loop: Header=BB27_213 Depth=1
	v_mul_u64_e32 v[8:9], s[8:9], v[8:9]
	s_delay_alu instid0(VALU_DEP_1) | instskip(NEXT) | instid1(VALU_DEP_1)
	v_mov_b32_e32 v4, v8
	v_mul_u64_e32 v[18:19], 5, v[4:5]
	s_delay_alu instid0(VALU_DEP_1) | instskip(NEXT) | instid1(VALU_DEP_1)
	v_mov_b32_e32 v4, v19
	v_mad_nc_u64_u32 v[18:19], v9, 5, v[4:5]
	s_delay_alu instid0(VALU_DEP_1) | instskip(NEXT) | instid1(VALU_DEP_1)
	v_dual_mov_b32 v4, v19 :: v_dual_mov_b32 v19, v5
	v_mad_nc_u64_u32 v[18:19], v8, 2, v[18:19]
	s_delay_alu instid0(VALU_DEP_1) | instskip(NEXT) | instid1(VALU_DEP_1)
	v_dual_mov_b32 v18, v19 :: v_dual_mov_b32 v19, v5
	v_add_nc_u64_e32 v[18:19], v[4:5], v[18:19]
	s_delay_alu instid0(VALU_DEP_1) | instskip(NEXT) | instid1(VALU_DEP_1)
	v_mad_nc_u64_u32 v[18:19], v9, 2, v[18:19]
	v_sub_nc_u64_e32 v[22:23], v[8:9], v[18:19]
	s_delay_alu instid0(VALU_DEP_1) | instskip(NEXT) | instid1(VALU_DEP_1)
	v_lshrrev_b64 v[22:23], 1, v[22:23]
	v_add_nc_u64_e32 v[18:19], v[22:23], v[18:19]
	s_delay_alu instid0(VALU_DEP_1) | instskip(NEXT) | instid1(VALU_DEP_1)
	v_lshrrev_b64 v[18:19], 30, v[18:19]
	v_mul_u64_e32 v[18:19], 0x7fffffff, v[18:19]
	s_delay_alu instid0(VALU_DEP_1)
	v_sub_nc_u64_e32 v[8:9], v[8:9], v[18:19]
	s_branch .LBB27_212
.LBB27_215:
	s_or_b32 exec_lo, exec_lo, s13
	v_add_min_u32_e64 v3, 0x80000001, v8, v8
	s_delay_alu instid0(VALU_DEP_1)
	v_add_min_u32_e64 v3, 0x80000001, v3, v3
.LBB27_216:
	s_or_b32 exec_lo, exec_lo, s12
	v_mov_b32_e32 v13, 0
	s_movk_i32 s3, 0x1388
	s_brev_b32 s2, 12
.LBB27_217:                             ; =>This Inner Loop Header: Depth=1
	v_mul_hi_u32 v4, 0xbc8f1391, v3
	s_delay_alu instid0(VALU_DEP_1) | instskip(NEXT) | instid1(VALU_DEP_1)
	v_lshrrev_b32_e32 v4, 15, v4
	v_mul_u32_u24_e32 v5, 0xadc8, v4
	s_delay_alu instid0(VALU_DEP_1) | instskip(SKIP_1) | instid1(VALU_DEP_2)
	v_sub_nc_u32_e32 v3, v3, v5
	v_mul_u32_u24_e32 v4, 0xd47, v4
	v_mul_lo_u32 v3, 0xbc8f, v3
	s_delay_alu instid0(VALU_DEP_2) | instskip(SKIP_1) | instid1(VALU_DEP_3)
	v_xor_b32_e32 v5, 0x7fffffff, v4
	v_sub_nc_u32_e32 v6, 0, v4
	v_cmp_lt_u32_e32 vcc_lo, v3, v4
	s_delay_alu instid0(VALU_DEP_2) | instskip(NEXT) | instid1(VALU_DEP_1)
	v_cndmask_b32_e32 v4, v6, v5, vcc_lo
	v_add_nc_u32_e32 v3, v4, v3
	s_delay_alu instid0(VALU_DEP_1) | instskip(NEXT) | instid1(VALU_DEP_1)
	v_mul_hi_u32 v4, 0xbc8f1391, v3
	v_lshrrev_b32_e32 v4, 15, v4
	s_delay_alu instid0(VALU_DEP_1) | instskip(SKIP_1) | instid1(VALU_DEP_2)
	v_mul_u32_u24_e32 v5, 0xadc8, v4
	v_mul_u32_u24_e32 v4, 0xd47, v4
	v_sub_nc_u32_e32 v5, v3, v5
	s_delay_alu instid0(VALU_DEP_2) | instskip(SKIP_1) | instid1(VALU_DEP_3)
	v_xor_b32_e32 v6, 0x7fffffff, v4
	v_add_nc_u32_e32 v3, -1, v3
	v_mul_lo_u32 v5, 0xbc8f, v5
	v_sub_nc_u32_e32 v7, 0, v4
	s_delay_alu instid0(VALU_DEP_2) | instskip(NEXT) | instid1(VALU_DEP_2)
	v_cmp_lt_u32_e32 vcc_lo, v5, v4
	v_cndmask_b32_e32 v4, v7, v6, vcc_lo
	s_delay_alu instid0(VALU_DEP_1) | instskip(NEXT) | instid1(VALU_DEP_1)
	v_add_nc_u32_e32 v5, v4, v5
	v_mul_hi_u32 v4, 0xbc8f1391, v5
	s_delay_alu instid0(VALU_DEP_1) | instskip(NEXT) | instid1(VALU_DEP_1)
	v_lshrrev_b32_e32 v4, 15, v4
	v_mul_u32_u24_e32 v6, 0xadc8, v4
	v_mul_u32_u24_e32 v4, 0xd47, v4
	s_delay_alu instid0(VALU_DEP_2) | instskip(NEXT) | instid1(VALU_DEP_2)
	v_sub_nc_u32_e32 v6, v5, v6
	v_xor_b32_e32 v7, 0x7fffffff, v4
	s_delay_alu instid0(VALU_DEP_2) | instskip(SKIP_1) | instid1(VALU_DEP_2)
	v_mul_lo_u32 v6, 0xbc8f, v6
	v_sub_nc_u32_e32 v8, 0, v4
	v_cmp_lt_u32_e32 vcc_lo, v6, v4
	s_delay_alu instid0(VALU_DEP_2) | instskip(NEXT) | instid1(VALU_DEP_1)
	v_dual_cndmask_b32 v4, v8, v7, vcc_lo :: v_dual_add_f32 v8, 1.0, v13
	v_add_nc_u32_e32 v6, v4, v6
	s_delay_alu instid0(VALU_DEP_1) | instskip(NEXT) | instid1(VALU_DEP_1)
	v_mul_hi_u32 v4, 0xbc8f1391, v6
	v_lshrrev_b32_e32 v4, 15, v4
	s_delay_alu instid0(VALU_DEP_1) | instskip(SKIP_2) | instid1(VALU_DEP_3)
	v_mul_u32_u24_e32 v7, 0xadc8, v4
	v_mul_u32_u24_e32 v9, 0xd47, v4
	v_cvt_f32_u32_e32 v4, v3
	v_sub_nc_u32_e32 v7, v6, v7
	s_delay_alu instid0(VALU_DEP_3) | instskip(SKIP_1) | instid1(VALU_DEP_3)
	v_xor_b32_e32 v3, 0x7fffffff, v9
	v_dual_sub_nc_u32 v14, 0, v9 :: v_dual_add_nc_u32 v6, -1, v6
	v_mul_lo_u32 v7, 0xbc8f, v7
	s_delay_alu instid0(VALU_DEP_2) | instskip(NEXT) | instid1(VALU_DEP_2)
	v_cvt_f32_u32_e32 v6, v6
	v_cmp_lt_u32_e32 vcc_lo, v7, v9
	s_delay_alu instid0(VALU_DEP_4) | instskip(NEXT) | instid1(VALU_DEP_1)
	v_dual_add_nc_u32 v5, -1, v5 :: v_dual_cndmask_b32 v3, v14, v3, vcc_lo
	v_cvt_f32_u32_e32 v5, v5
	s_delay_alu instid0(VALU_DEP_2) | instskip(NEXT) | instid1(VALU_DEP_2)
	v_add_nc_u32_e32 v3, v3, v7
	v_pk_fma_f32 v[4:5], v[4:5], s[2:3], 0 op_sel_hi:[1,0,0]
	s_delay_alu instid0(VALU_DEP_1) | instskip(NEXT) | instid1(VALU_DEP_1)
	v_pk_mul_f32 v[4:5], v[4:5], v[4:5]
	v_dual_add_nc_u32 v7, -1, v3 :: v_dual_add_f32 v9, v4, v5
	s_delay_alu instid0(VALU_DEP_1) | instskip(NEXT) | instid1(VALU_DEP_2)
	v_cvt_f32_u32_e32 v7, v7
	v_cmp_gt_f32_e32 vcc_lo, 0xf800000, v9
	s_delay_alu instid0(VALU_DEP_2) | instskip(SKIP_1) | instid1(SALU_CYCLE_1)
	v_pk_fma_f32 v[4:5], v[6:7], s[2:3], 0 op_sel_hi:[1,0,0]
	s_add_co_i32 s3, s3, -2
	s_cmp_lg_u32 s3, 0
	s_delay_alu instid0(VALU_DEP_1) | instskip(NEXT) | instid1(VALU_DEP_1)
	v_pk_mul_f32 v[4:5], v[4:5], v[4:5]
	v_add_f32_e32 v4, v4, v5
	s_delay_alu instid0(VALU_DEP_1) | instskip(NEXT) | instid1(VALU_DEP_1)
	v_dual_mul_f32 v6, 0x4f800000, v9 :: v_dual_mul_f32 v7, 0x4f800000, v4
	v_cndmask_b32_e32 v6, v9, v6, vcc_lo
	v_cmp_gt_f32_e64 s0, 0xf800000, v4
	s_delay_alu instid0(VALU_DEP_2) | instskip(SKIP_1) | instid1(TRANS32_DEP_1)
	v_sqrt_f32_e32 v5, v6
	v_nop
	v_dual_add_nc_u32 v9, -1, v5 :: v_dual_cndmask_b32 v4, v4, v7, s0
	s_delay_alu instid0(VALU_DEP_1) | instskip(NEXT) | instid1(VALU_DEP_2)
	v_dual_add_nc_u32 v7, 1, v5 :: v_dual_fma_f32 v14, -v9, v5, v6
	v_sqrt_f32_e32 v15, v4
	s_delay_alu instid0(VALU_DEP_1) | instskip(NEXT) | instid1(VALU_DEP_2)
	v_fma_f32 v16, -v7, v5, v6
	v_cmp_ge_f32_e64 s1, 0, v14
	s_delay_alu instid0(TRANS32_DEP_1) | instid1(VALU_DEP_1)
	v_dual_cndmask_b32 v5, v5, v9, s1 :: v_dual_add_nc_u32 v9, -1, v15
	s_delay_alu instid0(VALU_DEP_3) | instskip(NEXT) | instid1(VALU_DEP_1)
	v_cmp_lt_f32_e64 s1, 0, v16
	v_cndmask_b32_e64 v5, v5, v7, s1
	s_delay_alu instid0(VALU_DEP_3) | instskip(NEXT) | instid1(VALU_DEP_1)
	v_dual_add_nc_u32 v7, 1, v15 :: v_dual_fma_f32 v14, -v9, v15, v4
	v_fma_f32 v17, -v7, v15, v4
	s_delay_alu instid0(VALU_DEP_2) | instskip(NEXT) | instid1(VALU_DEP_1)
	v_cmp_ge_f32_e64 s1, 0, v14
	v_cndmask_b32_e64 v9, v15, v9, s1
	v_mul_f32_e32 v16, 0x37800000, v5
	s_delay_alu instid0(VALU_DEP_4) | instskip(NEXT) | instid1(VALU_DEP_1)
	v_cmp_lt_f32_e64 s1, 0, v17
	v_cndmask_b32_e64 v7, v9, v7, s1
	s_delay_alu instid0(VALU_DEP_3) | instskip(SKIP_1) | instid1(VALU_DEP_2)
	v_cndmask_b32_e32 v5, v5, v16, vcc_lo
	v_cmp_class_f32_e64 vcc_lo, v6, 0x260
	v_cndmask_b32_e32 v5, v5, v6, vcc_lo
	s_delay_alu instid0(VALU_DEP_1) | instskip(SKIP_2) | instid1(VALU_DEP_2)
	v_cmp_nge_f32_e32 vcc_lo, 1.0, v5
	v_dual_cndmask_b32 v5, v8, v13 :: v_dual_mul_f32 v6, 0x37800000, v7
	v_cmp_class_f32_e64 vcc_lo, v4, 0x260
	v_dual_cndmask_b32 v6, v7, v6, s0 :: v_dual_add_f32 v7, 1.0, v5
	s_delay_alu instid0(VALU_DEP_1) | instskip(NEXT) | instid1(VALU_DEP_1)
	v_cndmask_b32_e32 v4, v6, v4, vcc_lo
	v_cmp_nge_f32_e32 vcc_lo, 1.0, v4
	s_delay_alu instid0(VALU_DEP_3)
	v_cndmask_b32_e32 v13, v7, v5, vcc_lo
	s_cbranch_scc1 .LBB27_217
; %bb.218:
	v_dual_mov_b32 v3, 1 :: v_dual_add_nc_u32 v4, 0x4e2000, v2
	s_mov_b32 s1, 0
	s_mov_b32 s12, exec_lo
	s_delay_alu instid0(VALU_DEP_1)
	v_cmpx_ne_u32_e32 0, v4
	s_cbranch_execz .LBB27_240
; %bb.219:
	v_mov_b32_e32 v5, 0
	v_mov_b64_e32 v[8:9], 1
	s_mov_b64 s[8:9], 0xbc8f
	s_mov_b64 s[2:3], 0xfffffffd
	;; [unrolled: 1-line block ×3, first 2 shown]
	v_mov_b64_e32 v[6:7], v[4:5]
	s_mov_b64 s[6:7], 0x80000001
	s_mov_b32 s13, 0
	s_branch .LBB27_221
.LBB27_220:                             ;   in Loop: Header=BB27_221 Depth=1
	s_or_b32 exec_lo, exec_lo, s0
	s_mul_u64 s[8:9], s[8:9], s[8:9]
	s_mov_b32 s15, s1
	s_and_b64 s[16:17], s[8:9], s[2:3]
	s_mov_b32 s0, s9
	s_mul_u64 s[20:21], s[16:17], 3
	s_mul_u64 s[22:23], s[0:1], 3
	s_mov_b32 s14, s21
	s_mul_u64 s[16:17], s[16:17], s[6:7]
	s_add_nc_u64 s[14:15], s[22:23], s[14:15]
	v_lshrrev_b64 v[14:15], 1, v[6:7]
	s_and_b64 s[22:23], s[14:15], s[4:5]
	s_mov_b32 s21, s1
	s_add_nc_u64 s[16:17], s[16:17], s[22:23]
	s_mov_b32 s25, s1
	s_mov_b32 s20, s15
	;; [unrolled: 1-line block ×3, first 2 shown]
	s_mul_u64 s[16:17], s[0:1], s[6:7]
	s_add_nc_u64 s[14:15], s[20:21], s[24:25]
	v_cmp_gt_u64_e32 vcc_lo, 2, v[6:7]
	s_add_nc_u64 s[14:15], s[16:17], s[14:15]
	v_mov_b64_e32 v[6:7], v[14:15]
	s_lshr_b64 s[14:15], s[14:15], 30
	s_delay_alu instid0(SALU_CYCLE_1)
	s_mul_u64 s[14:15], s[14:15], 0x7fffffff
	s_or_b32 s13, vcc_lo, s13
	s_sub_nc_u64 s[8:9], s[8:9], s[14:15]
	s_and_not1_b32 exec_lo, exec_lo, s13
	s_cbranch_execz .LBB27_239
.LBB27_221:                             ; =>This Inner Loop Header: Depth=1
	s_delay_alu instid0(VALU_DEP_1) | instskip(SKIP_1) | instid1(VALU_DEP_1)
	v_and_b32_e32 v3, 1, v6
	s_mov_b32 s0, exec_lo
	v_cmpx_eq_u32_e32 1, v3
	s_cbranch_execz .LBB27_220
; %bb.222:                              ;   in Loop: Header=BB27_221 Depth=1
	v_mul_u64_e32 v[8:9], s[8:9], v[8:9]
	s_delay_alu instid0(VALU_DEP_1) | instskip(NEXT) | instid1(VALU_DEP_1)
	v_mov_b32_e32 v4, v8
	v_mul_u64_e32 v[14:15], 5, v[4:5]
	s_delay_alu instid0(VALU_DEP_1) | instskip(NEXT) | instid1(VALU_DEP_1)
	v_mov_b32_e32 v4, v15
	v_mad_nc_u64_u32 v[14:15], v9, 5, v[4:5]
	s_delay_alu instid0(VALU_DEP_1) | instskip(NEXT) | instid1(VALU_DEP_1)
	v_dual_mov_b32 v4, v15 :: v_dual_mov_b32 v15, v5
	v_mad_nc_u64_u32 v[14:15], v8, 2, v[14:15]
	s_delay_alu instid0(VALU_DEP_1) | instskip(NEXT) | instid1(VALU_DEP_1)
	v_dual_mov_b32 v14, v15 :: v_dual_mov_b32 v15, v5
	v_add_nc_u64_e32 v[14:15], v[4:5], v[14:15]
	s_delay_alu instid0(VALU_DEP_1) | instskip(NEXT) | instid1(VALU_DEP_1)
	v_mad_nc_u64_u32 v[14:15], v9, 2, v[14:15]
	v_sub_nc_u64_e32 v[16:17], v[8:9], v[14:15]
	s_delay_alu instid0(VALU_DEP_1) | instskip(NEXT) | instid1(VALU_DEP_1)
	v_lshrrev_b64 v[16:17], 1, v[16:17]
	v_add_nc_u64_e32 v[14:15], v[16:17], v[14:15]
	s_delay_alu instid0(VALU_DEP_1) | instskip(NEXT) | instid1(VALU_DEP_1)
	v_lshrrev_b64 v[14:15], 30, v[14:15]
	v_mul_u64_e32 v[14:15], 0x7fffffff, v[14:15]
	s_delay_alu instid0(VALU_DEP_1)
	v_sub_nc_u64_e32 v[8:9], v[8:9], v[14:15]
	s_branch .LBB27_220
.LBB27_223:
	s_or_b32 exec_lo, exec_lo, s13
	v_add_min_u32_e64 v1, 0x80000001, v6, v6
	s_delay_alu instid0(VALU_DEP_1)
	v_add_min_u32_e64 v1, 0x80000001, v1, v1
.LBB27_224:
	s_or_b32 exec_lo, exec_lo, s12
	v_mov_b32_e32 v11, 0
	s_movk_i32 s3, 0x1388
	s_brev_b32 s2, 12
.LBB27_225:                             ; =>This Inner Loop Header: Depth=1
	v_mul_hi_u32 v2, 0xbc8f1391, v1
	s_delay_alu instid0(VALU_DEP_1) | instskip(NEXT) | instid1(VALU_DEP_1)
	v_lshrrev_b32_e32 v2, 15, v2
	v_mul_u32_u24_e32 v3, 0xadc8, v2
	s_delay_alu instid0(VALU_DEP_1) | instskip(SKIP_1) | instid1(VALU_DEP_2)
	v_sub_nc_u32_e32 v1, v1, v3
	v_mul_u32_u24_e32 v2, 0xd47, v2
	v_mul_lo_u32 v1, 0xbc8f, v1
	s_delay_alu instid0(VALU_DEP_2) | instskip(SKIP_1) | instid1(VALU_DEP_3)
	v_xor_b32_e32 v3, 0x7fffffff, v2
	v_sub_nc_u32_e32 v4, 0, v2
	v_cmp_lt_u32_e32 vcc_lo, v1, v2
	s_delay_alu instid0(VALU_DEP_2) | instskip(NEXT) | instid1(VALU_DEP_1)
	v_cndmask_b32_e32 v2, v4, v3, vcc_lo
	v_add_nc_u32_e32 v1, v2, v1
	s_delay_alu instid0(VALU_DEP_1) | instskip(NEXT) | instid1(VALU_DEP_1)
	v_mul_hi_u32 v2, 0xbc8f1391, v1
	v_lshrrev_b32_e32 v2, 15, v2
	s_delay_alu instid0(VALU_DEP_1) | instskip(SKIP_1) | instid1(VALU_DEP_2)
	v_mul_u32_u24_e32 v3, 0xadc8, v2
	v_mul_u32_u24_e32 v2, 0xd47, v2
	v_sub_nc_u32_e32 v3, v1, v3
	s_delay_alu instid0(VALU_DEP_2) | instskip(SKIP_1) | instid1(VALU_DEP_3)
	v_xor_b32_e32 v4, 0x7fffffff, v2
	v_add_nc_u32_e32 v1, -1, v1
	v_mul_lo_u32 v3, 0xbc8f, v3
	v_sub_nc_u32_e32 v5, 0, v2
	s_delay_alu instid0(VALU_DEP_2) | instskip(NEXT) | instid1(VALU_DEP_2)
	v_cmp_lt_u32_e32 vcc_lo, v3, v2
	v_cndmask_b32_e32 v2, v5, v4, vcc_lo
	s_delay_alu instid0(VALU_DEP_1) | instskip(NEXT) | instid1(VALU_DEP_1)
	v_add_nc_u32_e32 v3, v2, v3
	v_mul_hi_u32 v2, 0xbc8f1391, v3
	s_delay_alu instid0(VALU_DEP_1) | instskip(NEXT) | instid1(VALU_DEP_1)
	v_lshrrev_b32_e32 v2, 15, v2
	v_mul_u32_u24_e32 v4, 0xadc8, v2
	v_mul_u32_u24_e32 v2, 0xd47, v2
	s_delay_alu instid0(VALU_DEP_2) | instskip(NEXT) | instid1(VALU_DEP_2)
	v_sub_nc_u32_e32 v4, v3, v4
	v_xor_b32_e32 v5, 0x7fffffff, v2
	s_delay_alu instid0(VALU_DEP_2) | instskip(SKIP_1) | instid1(VALU_DEP_2)
	v_mul_lo_u32 v4, 0xbc8f, v4
	v_sub_nc_u32_e32 v6, 0, v2
	v_cmp_lt_u32_e32 vcc_lo, v4, v2
	s_delay_alu instid0(VALU_DEP_2) | instskip(NEXT) | instid1(VALU_DEP_1)
	v_dual_cndmask_b32 v2, v6, v5, vcc_lo :: v_dual_add_f32 v6, 1.0, v11
	v_add_nc_u32_e32 v4, v2, v4
	s_delay_alu instid0(VALU_DEP_1) | instskip(NEXT) | instid1(VALU_DEP_1)
	v_mul_hi_u32 v2, 0xbc8f1391, v4
	v_lshrrev_b32_e32 v2, 15, v2
	s_delay_alu instid0(VALU_DEP_1) | instskip(SKIP_2) | instid1(VALU_DEP_3)
	v_mul_u32_u24_e32 v5, 0xadc8, v2
	v_mul_u32_u24_e32 v7, 0xd47, v2
	v_cvt_f32_u32_e32 v2, v1
	v_sub_nc_u32_e32 v5, v4, v5
	s_delay_alu instid0(VALU_DEP_3) | instskip(SKIP_1) | instid1(VALU_DEP_3)
	v_xor_b32_e32 v1, 0x7fffffff, v7
	v_dual_sub_nc_u32 v12, 0, v7 :: v_dual_add_nc_u32 v4, -1, v4
	v_mul_lo_u32 v5, 0xbc8f, v5
	s_delay_alu instid0(VALU_DEP_2) | instskip(NEXT) | instid1(VALU_DEP_2)
	v_cvt_f32_u32_e32 v4, v4
	v_cmp_lt_u32_e32 vcc_lo, v5, v7
	s_delay_alu instid0(VALU_DEP_4) | instskip(NEXT) | instid1(VALU_DEP_1)
	v_dual_add_nc_u32 v3, -1, v3 :: v_dual_cndmask_b32 v1, v12, v1, vcc_lo
	v_cvt_f32_u32_e32 v3, v3
	s_delay_alu instid0(VALU_DEP_2) | instskip(NEXT) | instid1(VALU_DEP_2)
	v_add_nc_u32_e32 v1, v1, v5
	v_pk_fma_f32 v[2:3], v[2:3], s[2:3], 0 op_sel_hi:[1,0,0]
	s_delay_alu instid0(VALU_DEP_1) | instskip(NEXT) | instid1(VALU_DEP_1)
	v_pk_mul_f32 v[2:3], v[2:3], v[2:3]
	v_dual_add_nc_u32 v5, -1, v1 :: v_dual_add_f32 v7, v2, v3
	s_delay_alu instid0(VALU_DEP_1) | instskip(NEXT) | instid1(VALU_DEP_2)
	v_cvt_f32_u32_e32 v5, v5
	v_cmp_gt_f32_e32 vcc_lo, 0xf800000, v7
	s_delay_alu instid0(VALU_DEP_2) | instskip(SKIP_1) | instid1(SALU_CYCLE_1)
	v_pk_fma_f32 v[2:3], v[4:5], s[2:3], 0 op_sel_hi:[1,0,0]
	s_add_co_i32 s3, s3, -2
	s_cmp_lg_u32 s3, 0
	s_delay_alu instid0(VALU_DEP_1) | instskip(NEXT) | instid1(VALU_DEP_1)
	v_pk_mul_f32 v[2:3], v[2:3], v[2:3]
	v_add_f32_e32 v2, v2, v3
	s_delay_alu instid0(VALU_DEP_1) | instskip(NEXT) | instid1(VALU_DEP_1)
	v_dual_mul_f32 v4, 0x4f800000, v7 :: v_dual_mul_f32 v5, 0x4f800000, v2
	v_cndmask_b32_e32 v4, v7, v4, vcc_lo
	v_cmp_gt_f32_e64 s0, 0xf800000, v2
	s_delay_alu instid0(VALU_DEP_2) | instskip(SKIP_1) | instid1(TRANS32_DEP_1)
	v_sqrt_f32_e32 v3, v4
	v_nop
	v_dual_add_nc_u32 v7, -1, v3 :: v_dual_cndmask_b32 v2, v2, v5, s0
	s_delay_alu instid0(VALU_DEP_1) | instskip(NEXT) | instid1(VALU_DEP_2)
	v_dual_add_nc_u32 v5, 1, v3 :: v_dual_fma_f32 v12, -v7, v3, v4
	v_sqrt_f32_e32 v13, v2
	s_delay_alu instid0(VALU_DEP_1) | instskip(NEXT) | instid1(VALU_DEP_2)
	v_fma_f32 v14, -v5, v3, v4
	v_cmp_ge_f32_e64 s1, 0, v12
	s_delay_alu instid0(TRANS32_DEP_1) | instid1(VALU_DEP_1)
	v_dual_cndmask_b32 v3, v3, v7, s1 :: v_dual_add_nc_u32 v7, -1, v13
	s_delay_alu instid0(VALU_DEP_3) | instskip(NEXT) | instid1(VALU_DEP_1)
	v_cmp_lt_f32_e64 s1, 0, v14
	v_cndmask_b32_e64 v3, v3, v5, s1
	s_delay_alu instid0(VALU_DEP_3) | instskip(NEXT) | instid1(VALU_DEP_1)
	v_dual_add_nc_u32 v5, 1, v13 :: v_dual_fma_f32 v12, -v7, v13, v2
	v_fma_f32 v15, -v5, v13, v2
	s_delay_alu instid0(VALU_DEP_2) | instskip(NEXT) | instid1(VALU_DEP_1)
	v_cmp_ge_f32_e64 s1, 0, v12
	v_cndmask_b32_e64 v7, v13, v7, s1
	v_mul_f32_e32 v14, 0x37800000, v3
	s_delay_alu instid0(VALU_DEP_4) | instskip(NEXT) | instid1(VALU_DEP_1)
	v_cmp_lt_f32_e64 s1, 0, v15
	v_cndmask_b32_e64 v5, v7, v5, s1
	s_delay_alu instid0(VALU_DEP_3) | instskip(SKIP_1) | instid1(VALU_DEP_2)
	v_cndmask_b32_e32 v3, v3, v14, vcc_lo
	v_cmp_class_f32_e64 vcc_lo, v4, 0x260
	v_cndmask_b32_e32 v3, v3, v4, vcc_lo
	s_delay_alu instid0(VALU_DEP_1) | instskip(SKIP_2) | instid1(VALU_DEP_2)
	v_cmp_nge_f32_e32 vcc_lo, 1.0, v3
	v_dual_cndmask_b32 v3, v6, v11 :: v_dual_mul_f32 v4, 0x37800000, v5
	v_cmp_class_f32_e64 vcc_lo, v2, 0x260
	v_dual_cndmask_b32 v4, v5, v4, s0 :: v_dual_add_f32 v5, 1.0, v3
	s_delay_alu instid0(VALU_DEP_1) | instskip(NEXT) | instid1(VALU_DEP_1)
	v_cndmask_b32_e32 v2, v4, v2, vcc_lo
	v_cmp_nge_f32_e32 vcc_lo, 1.0, v2
	s_delay_alu instid0(VALU_DEP_3)
	v_cndmask_b32_e32 v11, v5, v3, vcc_lo
	s_cbranch_scc1 .LBB27_225
; %bb.226:
	v_dual_mov_b32 v1, 1 :: v_dual_add_nc_u32 v2, 0x4e2000, v0
	s_mov_b32 s1, 0
	s_mov_b32 s12, exec_lo
	s_delay_alu instid0(VALU_DEP_1)
	v_cmpx_ne_u32_e32 0, v2
	s_cbranch_execz .LBB27_248
; %bb.227:
	v_mov_b32_e32 v3, 0
	v_mov_b64_e32 v[6:7], 1
	s_mov_b64 s[8:9], 0xbc8f
	s_mov_b64 s[2:3], 0xfffffffd
	;; [unrolled: 1-line block ×3, first 2 shown]
	v_mov_b64_e32 v[4:5], v[2:3]
	s_mov_b64 s[6:7], 0x80000001
	s_mov_b32 s13, 0
	s_branch .LBB27_229
.LBB27_228:                             ;   in Loop: Header=BB27_229 Depth=1
	s_or_b32 exec_lo, exec_lo, s0
	s_mul_u64 s[8:9], s[8:9], s[8:9]
	s_mov_b32 s15, s1
	s_and_b64 s[16:17], s[8:9], s[2:3]
	s_mov_b32 s0, s9
	s_mul_u64 s[18:19], s[16:17], 3
	s_mul_u64 s[20:21], s[0:1], 3
	s_mov_b32 s14, s19
	s_mul_u64 s[16:17], s[16:17], s[6:7]
	s_add_nc_u64 s[14:15], s[20:21], s[14:15]
	v_lshrrev_b64 v[12:13], 1, v[4:5]
	s_and_b64 s[20:21], s[14:15], s[4:5]
	s_mov_b32 s19, s1
	s_add_nc_u64 s[16:17], s[16:17], s[20:21]
	s_mov_b32 s23, s1
	s_mov_b32 s18, s15
	;; [unrolled: 1-line block ×3, first 2 shown]
	s_mul_u64 s[16:17], s[0:1], s[6:7]
	s_add_nc_u64 s[14:15], s[18:19], s[22:23]
	v_cmp_gt_u64_e32 vcc_lo, 2, v[4:5]
	s_add_nc_u64 s[14:15], s[16:17], s[14:15]
	v_mov_b64_e32 v[4:5], v[12:13]
	s_lshr_b64 s[14:15], s[14:15], 30
	s_delay_alu instid0(SALU_CYCLE_1)
	s_mul_u64 s[14:15], s[14:15], 0x7fffffff
	s_or_b32 s13, vcc_lo, s13
	s_sub_nc_u64 s[8:9], s[8:9], s[14:15]
	s_and_not1_b32 exec_lo, exec_lo, s13
	s_cbranch_execz .LBB27_247
.LBB27_229:                             ; =>This Inner Loop Header: Depth=1
	s_delay_alu instid0(VALU_DEP_1) | instskip(SKIP_1) | instid1(VALU_DEP_1)
	v_and_b32_e32 v1, 1, v4
	s_mov_b32 s0, exec_lo
	v_cmpx_eq_u32_e32 1, v1
	s_cbranch_execz .LBB27_228
; %bb.230:                              ;   in Loop: Header=BB27_229 Depth=1
	v_mul_u64_e32 v[6:7], s[8:9], v[6:7]
	s_delay_alu instid0(VALU_DEP_1) | instskip(NEXT) | instid1(VALU_DEP_1)
	v_mov_b32_e32 v2, v6
	v_mul_u64_e32 v[12:13], 5, v[2:3]
	s_delay_alu instid0(VALU_DEP_1) | instskip(NEXT) | instid1(VALU_DEP_1)
	v_mov_b32_e32 v2, v13
	v_mad_nc_u64_u32 v[12:13], v7, 5, v[2:3]
	s_delay_alu instid0(VALU_DEP_1) | instskip(NEXT) | instid1(VALU_DEP_1)
	v_dual_mov_b32 v2, v13 :: v_dual_mov_b32 v13, v3
	v_mad_nc_u64_u32 v[12:13], v6, 2, v[12:13]
	s_delay_alu instid0(VALU_DEP_1) | instskip(NEXT) | instid1(VALU_DEP_1)
	v_dual_mov_b32 v12, v13 :: v_dual_mov_b32 v13, v3
	v_add_nc_u64_e32 v[12:13], v[2:3], v[12:13]
	s_delay_alu instid0(VALU_DEP_1) | instskip(NEXT) | instid1(VALU_DEP_1)
	v_mad_nc_u64_u32 v[12:13], v7, 2, v[12:13]
	v_sub_nc_u64_e32 v[14:15], v[6:7], v[12:13]
	s_delay_alu instid0(VALU_DEP_1) | instskip(NEXT) | instid1(VALU_DEP_1)
	v_lshrrev_b64 v[14:15], 1, v[14:15]
	v_add_nc_u64_e32 v[12:13], v[14:15], v[12:13]
	s_delay_alu instid0(VALU_DEP_1) | instskip(NEXT) | instid1(VALU_DEP_1)
	v_lshrrev_b64 v[12:13], 30, v[12:13]
	v_mul_u64_e32 v[12:13], 0x7fffffff, v[12:13]
	s_delay_alu instid0(VALU_DEP_1)
	v_sub_nc_u64_e32 v[6:7], v[6:7], v[12:13]
	s_branch .LBB27_228
.LBB27_231:
	s_or_b32 exec_lo, exec_lo, s15
	v_add_min_u32_e64 v3, 0x80000001, v8, v8
	s_delay_alu instid0(VALU_DEP_1)
	v_add_min_u32_e64 v3, 0x80000001, v3, v3
.LBB27_232:
	s_or_b32 exec_lo, exec_lo, s14
	v_mov_b32_e32 v18, 0
	s_movk_i32 s3, 0x1388
	s_brev_b32 s2, 12
.LBB27_233:                             ; =>This Inner Loop Header: Depth=1
	v_mul_hi_u32 v4, 0xbc8f1391, v3
	s_delay_alu instid0(VALU_DEP_1) | instskip(NEXT) | instid1(VALU_DEP_1)
	v_lshrrev_b32_e32 v4, 15, v4
	v_mul_u32_u24_e32 v5, 0xadc8, v4
	s_delay_alu instid0(VALU_DEP_1) | instskip(SKIP_1) | instid1(VALU_DEP_2)
	v_sub_nc_u32_e32 v3, v3, v5
	v_mul_u32_u24_e32 v4, 0xd47, v4
	v_mul_lo_u32 v3, 0xbc8f, v3
	s_delay_alu instid0(VALU_DEP_2) | instskip(SKIP_1) | instid1(VALU_DEP_3)
	v_xor_b32_e32 v5, 0x7fffffff, v4
	v_sub_nc_u32_e32 v6, 0, v4
	v_cmp_lt_u32_e32 vcc_lo, v3, v4
	s_delay_alu instid0(VALU_DEP_2) | instskip(NEXT) | instid1(VALU_DEP_1)
	v_cndmask_b32_e32 v4, v6, v5, vcc_lo
	v_add_nc_u32_e32 v3, v4, v3
	s_delay_alu instid0(VALU_DEP_1) | instskip(NEXT) | instid1(VALU_DEP_1)
	v_mul_hi_u32 v4, 0xbc8f1391, v3
	v_lshrrev_b32_e32 v4, 15, v4
	s_delay_alu instid0(VALU_DEP_1) | instskip(SKIP_1) | instid1(VALU_DEP_2)
	v_mul_u32_u24_e32 v5, 0xadc8, v4
	v_mul_u32_u24_e32 v4, 0xd47, v4
	v_sub_nc_u32_e32 v5, v3, v5
	s_delay_alu instid0(VALU_DEP_2) | instskip(SKIP_1) | instid1(VALU_DEP_3)
	v_xor_b32_e32 v6, 0x7fffffff, v4
	v_add_nc_u32_e32 v3, -1, v3
	v_mul_lo_u32 v5, 0xbc8f, v5
	v_sub_nc_u32_e32 v7, 0, v4
	s_delay_alu instid0(VALU_DEP_2) | instskip(NEXT) | instid1(VALU_DEP_2)
	v_cmp_lt_u32_e32 vcc_lo, v5, v4
	v_cndmask_b32_e32 v4, v7, v6, vcc_lo
	s_delay_alu instid0(VALU_DEP_1) | instskip(NEXT) | instid1(VALU_DEP_1)
	v_add_nc_u32_e32 v5, v4, v5
	v_mul_hi_u32 v4, 0xbc8f1391, v5
	s_delay_alu instid0(VALU_DEP_1) | instskip(NEXT) | instid1(VALU_DEP_1)
	v_lshrrev_b32_e32 v4, 15, v4
	v_mul_u32_u24_e32 v6, 0xadc8, v4
	v_mul_u32_u24_e32 v4, 0xd47, v4
	s_delay_alu instid0(VALU_DEP_2) | instskip(NEXT) | instid1(VALU_DEP_2)
	v_sub_nc_u32_e32 v6, v5, v6
	v_xor_b32_e32 v7, 0x7fffffff, v4
	s_delay_alu instid0(VALU_DEP_2) | instskip(SKIP_1) | instid1(VALU_DEP_2)
	v_mul_lo_u32 v6, 0xbc8f, v6
	v_sub_nc_u32_e32 v8, 0, v4
	v_cmp_lt_u32_e32 vcc_lo, v6, v4
	s_delay_alu instid0(VALU_DEP_2) | instskip(NEXT) | instid1(VALU_DEP_1)
	v_dual_cndmask_b32 v4, v8, v7, vcc_lo :: v_dual_add_f32 v8, 1.0, v18
	v_add_nc_u32_e32 v6, v4, v6
	s_delay_alu instid0(VALU_DEP_1) | instskip(NEXT) | instid1(VALU_DEP_1)
	v_mul_hi_u32 v4, 0xbc8f1391, v6
	v_lshrrev_b32_e32 v4, 15, v4
	s_delay_alu instid0(VALU_DEP_1) | instskip(SKIP_2) | instid1(VALU_DEP_3)
	v_mul_u32_u24_e32 v7, 0xadc8, v4
	v_mul_u32_u24_e32 v9, 0xd47, v4
	v_cvt_f32_u32_e32 v4, v3
	v_sub_nc_u32_e32 v7, v6, v7
	s_delay_alu instid0(VALU_DEP_3) | instskip(SKIP_1) | instid1(VALU_DEP_3)
	v_xor_b32_e32 v3, 0x7fffffff, v9
	v_dual_sub_nc_u32 v19, 0, v9 :: v_dual_add_nc_u32 v6, -1, v6
	v_mul_lo_u32 v7, 0xbc8f, v7
	s_delay_alu instid0(VALU_DEP_2) | instskip(NEXT) | instid1(VALU_DEP_2)
	v_cvt_f32_u32_e32 v6, v6
	v_cmp_lt_u32_e32 vcc_lo, v7, v9
	s_delay_alu instid0(VALU_DEP_4) | instskip(NEXT) | instid1(VALU_DEP_1)
	v_dual_add_nc_u32 v5, -1, v5 :: v_dual_cndmask_b32 v3, v19, v3, vcc_lo
	v_cvt_f32_u32_e32 v5, v5
	s_delay_alu instid0(VALU_DEP_2) | instskip(NEXT) | instid1(VALU_DEP_2)
	v_add_nc_u32_e32 v3, v3, v7
	v_pk_fma_f32 v[4:5], v[4:5], s[2:3], 0 op_sel_hi:[1,0,0]
	s_delay_alu instid0(VALU_DEP_1) | instskip(NEXT) | instid1(VALU_DEP_1)
	v_pk_mul_f32 v[4:5], v[4:5], v[4:5]
	v_dual_add_nc_u32 v7, -1, v3 :: v_dual_add_f32 v9, v4, v5
	s_delay_alu instid0(VALU_DEP_1) | instskip(NEXT) | instid1(VALU_DEP_2)
	v_cvt_f32_u32_e32 v7, v7
	v_cmp_gt_f32_e32 vcc_lo, 0xf800000, v9
	s_delay_alu instid0(VALU_DEP_2) | instskip(SKIP_1) | instid1(SALU_CYCLE_1)
	v_pk_fma_f32 v[4:5], v[6:7], s[2:3], 0 op_sel_hi:[1,0,0]
	s_add_co_i32 s3, s3, -2
	s_cmp_lg_u32 s3, 0
	s_delay_alu instid0(VALU_DEP_1) | instskip(NEXT) | instid1(VALU_DEP_1)
	v_pk_mul_f32 v[4:5], v[4:5], v[4:5]
	v_add_f32_e32 v4, v4, v5
	s_delay_alu instid0(VALU_DEP_1) | instskip(NEXT) | instid1(VALU_DEP_1)
	v_dual_mul_f32 v6, 0x4f800000, v9 :: v_dual_mul_f32 v7, 0x4f800000, v4
	v_cndmask_b32_e32 v6, v9, v6, vcc_lo
	v_cmp_gt_f32_e64 s0, 0xf800000, v4
	s_delay_alu instid0(VALU_DEP_2) | instskip(SKIP_1) | instid1(TRANS32_DEP_1)
	v_sqrt_f32_e32 v5, v6
	v_nop
	v_dual_add_nc_u32 v9, -1, v5 :: v_dual_cndmask_b32 v4, v4, v7, s0
	s_delay_alu instid0(VALU_DEP_1) | instskip(NEXT) | instid1(VALU_DEP_2)
	v_dual_add_nc_u32 v7, 1, v5 :: v_dual_fma_f32 v19, -v9, v5, v6
	v_sqrt_f32_e32 v21, v4
	s_delay_alu instid0(VALU_DEP_1) | instskip(NEXT) | instid1(VALU_DEP_2)
	v_fma_f32 v22, -v7, v5, v6
	v_cmp_ge_f32_e64 s1, 0, v19
	s_delay_alu instid0(VALU_DEP_1) | instskip(NEXT) | instid1(VALU_DEP_3)
	v_cndmask_b32_e64 v5, v5, v9, s1
	v_cmp_lt_f32_e64 s1, 0, v22
	s_delay_alu instid0(TRANS32_DEP_1) | instid1(VALU_DEP_1)
	v_dual_add_nc_u32 v9, -1, v21 :: v_dual_cndmask_b32 v5, v5, v7, s1
	s_delay_alu instid0(VALU_DEP_1) | instskip(NEXT) | instid1(VALU_DEP_2)
	v_dual_add_nc_u32 v7, 1, v21 :: v_dual_fma_f32 v19, -v9, v21, v4
	v_mul_f32_e32 v22, 0x37800000, v5
	s_delay_alu instid0(VALU_DEP_2) | instskip(NEXT) | instid1(VALU_DEP_3)
	v_fma_f32 v23, -v7, v21, v4
	v_cmp_ge_f32_e64 s1, 0, v19
	s_delay_alu instid0(VALU_DEP_3) | instskip(SKIP_1) | instid1(VALU_DEP_2)
	v_cndmask_b32_e32 v5, v5, v22, vcc_lo
	v_cmp_class_f32_e64 vcc_lo, v6, 0x260
	v_cndmask_b32_e32 v5, v5, v6, vcc_lo
	s_delay_alu instid0(VALU_DEP_1) | instskip(SKIP_4) | instid1(VALU_DEP_3)
	v_cmp_nge_f32_e32 vcc_lo, 1.0, v5
	v_cndmask_b32_e64 v9, v21, v9, s1
	v_cmp_lt_f32_e64 s1, 0, v23
	v_cndmask_b32_e32 v5, v8, v18, vcc_lo
	v_cmp_class_f32_e64 vcc_lo, v4, 0x260
	v_cndmask_b32_e64 v7, v9, v7, s1
	s_delay_alu instid0(VALU_DEP_1) | instskip(NEXT) | instid1(VALU_DEP_1)
	v_mul_f32_e32 v6, 0x37800000, v7
	v_dual_cndmask_b32 v6, v7, v6, s0 :: v_dual_add_f32 v7, 1.0, v5
	s_delay_alu instid0(VALU_DEP_1) | instskip(NEXT) | instid1(VALU_DEP_1)
	v_cndmask_b32_e32 v4, v6, v4, vcc_lo
	v_cmp_nge_f32_e32 vcc_lo, 1.0, v4
	s_delay_alu instid0(VALU_DEP_3)
	v_cndmask_b32_e32 v18, v7, v5, vcc_lo
	s_cbranch_scc1 .LBB27_233
; %bb.234:
	v_dual_mov_b32 v3, 1 :: v_dual_add_nc_u32 v4, 0x61a800, v2
	s_mov_b32 s1, 0
	s_mov_b32 s14, exec_lo
	s_delay_alu instid0(VALU_DEP_1)
	v_cmpx_ne_u32_e32 0, v4
	s_cbranch_execz .LBB27_256
; %bb.235:
	v_mov_b32_e32 v5, 0
	v_mov_b64_e32 v[8:9], 1
	s_mov_b64 s[8:9], 0xbc8f
	s_mov_b64 s[2:3], 0xfffffffd
	;; [unrolled: 1-line block ×3, first 2 shown]
	v_mov_b64_e32 v[6:7], v[4:5]
	s_mov_b64 s[6:7], 0x80000001
	s_mov_b32 s15, 0
	s_branch .LBB27_237
.LBB27_236:                             ;   in Loop: Header=BB27_237 Depth=1
	s_or_b32 exec_lo, exec_lo, s0
	s_mul_u64 s[8:9], s[8:9], s[8:9]
	s_mov_b32 s17, s1
	s_and_b64 s[18:19], s[8:9], s[2:3]
	s_mov_b32 s0, s9
	s_mul_u64 s[22:23], s[18:19], 3
	s_mul_u64 s[24:25], s[0:1], 3
	s_mov_b32 s16, s23
	s_mul_u64 s[18:19], s[18:19], s[6:7]
	s_add_nc_u64 s[16:17], s[24:25], s[16:17]
	v_lshrrev_b64 v[22:23], 1, v[6:7]
	s_and_b64 s[24:25], s[16:17], s[4:5]
	s_mov_b32 s23, s1
	s_add_nc_u64 s[18:19], s[18:19], s[24:25]
	s_mov_b32 s27, s1
	s_mov_b32 s22, s17
	;; [unrolled: 1-line block ×3, first 2 shown]
	s_mul_u64 s[18:19], s[0:1], s[6:7]
	s_add_nc_u64 s[16:17], s[22:23], s[26:27]
	v_cmp_gt_u64_e32 vcc_lo, 2, v[6:7]
	s_add_nc_u64 s[16:17], s[18:19], s[16:17]
	v_mov_b64_e32 v[6:7], v[22:23]
	s_lshr_b64 s[16:17], s[16:17], 30
	s_delay_alu instid0(SALU_CYCLE_1)
	s_mul_u64 s[16:17], s[16:17], 0x7fffffff
	s_or_b32 s15, vcc_lo, s15
	s_sub_nc_u64 s[8:9], s[8:9], s[16:17]
	s_and_not1_b32 exec_lo, exec_lo, s15
	s_cbranch_execz .LBB27_255
.LBB27_237:                             ; =>This Inner Loop Header: Depth=1
	s_delay_alu instid0(VALU_DEP_1) | instskip(SKIP_1) | instid1(VALU_DEP_1)
	v_and_b32_e32 v3, 1, v6
	s_mov_b32 s0, exec_lo
	v_cmpx_eq_u32_e32 1, v3
	s_cbranch_execz .LBB27_236
; %bb.238:                              ;   in Loop: Header=BB27_237 Depth=1
	v_mul_u64_e32 v[8:9], s[8:9], v[8:9]
	s_delay_alu instid0(VALU_DEP_1) | instskip(NEXT) | instid1(VALU_DEP_1)
	v_mov_b32_e32 v4, v8
	v_mul_u64_e32 v[22:23], 5, v[4:5]
	s_delay_alu instid0(VALU_DEP_1) | instskip(NEXT) | instid1(VALU_DEP_1)
	v_mov_b32_e32 v4, v23
	v_mad_nc_u64_u32 v[22:23], v9, 5, v[4:5]
	s_delay_alu instid0(VALU_DEP_1) | instskip(NEXT) | instid1(VALU_DEP_1)
	v_dual_mov_b32 v4, v23 :: v_dual_mov_b32 v23, v5
	v_mad_nc_u64_u32 v[22:23], v8, 2, v[22:23]
	s_delay_alu instid0(VALU_DEP_1) | instskip(NEXT) | instid1(VALU_DEP_1)
	v_dual_mov_b32 v22, v23 :: v_dual_mov_b32 v23, v5
	v_add_nc_u64_e32 v[22:23], v[4:5], v[22:23]
	s_delay_alu instid0(VALU_DEP_1) | instskip(NEXT) | instid1(VALU_DEP_1)
	v_mad_nc_u64_u32 v[22:23], v9, 2, v[22:23]
	v_sub_nc_u64_e32 v[24:25], v[8:9], v[22:23]
	s_delay_alu instid0(VALU_DEP_1) | instskip(NEXT) | instid1(VALU_DEP_1)
	v_lshrrev_b64 v[24:25], 1, v[24:25]
	v_add_nc_u64_e32 v[22:23], v[24:25], v[22:23]
	s_delay_alu instid0(VALU_DEP_1) | instskip(NEXT) | instid1(VALU_DEP_1)
	v_lshrrev_b64 v[22:23], 30, v[22:23]
	v_mul_u64_e32 v[22:23], 0x7fffffff, v[22:23]
	s_delay_alu instid0(VALU_DEP_1)
	v_sub_nc_u64_e32 v[8:9], v[8:9], v[22:23]
	s_branch .LBB27_236
.LBB27_239:
	s_or_b32 exec_lo, exec_lo, s13
	v_add_min_u32_e64 v3, 0x80000001, v8, v8
	s_delay_alu instid0(VALU_DEP_1)
	v_add_min_u32_e64 v3, 0x80000001, v3, v3
.LBB27_240:
	s_or_b32 exec_lo, exec_lo, s12
	v_mov_b32_e32 v14, 0
	s_movk_i32 s3, 0x1388
	s_brev_b32 s2, 12
.LBB27_241:                             ; =>This Inner Loop Header: Depth=1
	v_mul_hi_u32 v4, 0xbc8f1391, v3
	s_delay_alu instid0(VALU_DEP_1) | instskip(NEXT) | instid1(VALU_DEP_1)
	v_lshrrev_b32_e32 v4, 15, v4
	v_mul_u32_u24_e32 v5, 0xadc8, v4
	s_delay_alu instid0(VALU_DEP_1) | instskip(SKIP_1) | instid1(VALU_DEP_2)
	v_sub_nc_u32_e32 v3, v3, v5
	v_mul_u32_u24_e32 v4, 0xd47, v4
	v_mul_lo_u32 v3, 0xbc8f, v3
	s_delay_alu instid0(VALU_DEP_2) | instskip(SKIP_1) | instid1(VALU_DEP_3)
	v_xor_b32_e32 v5, 0x7fffffff, v4
	v_sub_nc_u32_e32 v6, 0, v4
	v_cmp_lt_u32_e32 vcc_lo, v3, v4
	s_delay_alu instid0(VALU_DEP_2) | instskip(NEXT) | instid1(VALU_DEP_1)
	v_cndmask_b32_e32 v4, v6, v5, vcc_lo
	v_add_nc_u32_e32 v3, v4, v3
	s_delay_alu instid0(VALU_DEP_1) | instskip(NEXT) | instid1(VALU_DEP_1)
	v_mul_hi_u32 v4, 0xbc8f1391, v3
	v_lshrrev_b32_e32 v4, 15, v4
	s_delay_alu instid0(VALU_DEP_1) | instskip(SKIP_1) | instid1(VALU_DEP_2)
	v_mul_u32_u24_e32 v5, 0xadc8, v4
	v_mul_u32_u24_e32 v4, 0xd47, v4
	v_sub_nc_u32_e32 v5, v3, v5
	s_delay_alu instid0(VALU_DEP_2) | instskip(SKIP_1) | instid1(VALU_DEP_3)
	v_xor_b32_e32 v6, 0x7fffffff, v4
	v_add_nc_u32_e32 v3, -1, v3
	v_mul_lo_u32 v5, 0xbc8f, v5
	v_sub_nc_u32_e32 v7, 0, v4
	s_delay_alu instid0(VALU_DEP_2) | instskip(NEXT) | instid1(VALU_DEP_2)
	v_cmp_lt_u32_e32 vcc_lo, v5, v4
	v_cndmask_b32_e32 v4, v7, v6, vcc_lo
	s_delay_alu instid0(VALU_DEP_1) | instskip(NEXT) | instid1(VALU_DEP_1)
	v_add_nc_u32_e32 v5, v4, v5
	v_mul_hi_u32 v4, 0xbc8f1391, v5
	s_delay_alu instid0(VALU_DEP_1) | instskip(NEXT) | instid1(VALU_DEP_1)
	v_lshrrev_b32_e32 v4, 15, v4
	v_mul_u32_u24_e32 v6, 0xadc8, v4
	v_mul_u32_u24_e32 v4, 0xd47, v4
	s_delay_alu instid0(VALU_DEP_2) | instskip(NEXT) | instid1(VALU_DEP_2)
	v_sub_nc_u32_e32 v6, v5, v6
	v_xor_b32_e32 v7, 0x7fffffff, v4
	s_delay_alu instid0(VALU_DEP_2) | instskip(SKIP_1) | instid1(VALU_DEP_2)
	v_mul_lo_u32 v6, 0xbc8f, v6
	v_sub_nc_u32_e32 v8, 0, v4
	v_cmp_lt_u32_e32 vcc_lo, v6, v4
	s_delay_alu instid0(VALU_DEP_2) | instskip(NEXT) | instid1(VALU_DEP_1)
	v_dual_cndmask_b32 v4, v8, v7, vcc_lo :: v_dual_add_f32 v8, 1.0, v14
	v_add_nc_u32_e32 v6, v4, v6
	s_delay_alu instid0(VALU_DEP_1) | instskip(NEXT) | instid1(VALU_DEP_1)
	v_mul_hi_u32 v4, 0xbc8f1391, v6
	v_lshrrev_b32_e32 v4, 15, v4
	s_delay_alu instid0(VALU_DEP_1) | instskip(SKIP_2) | instid1(VALU_DEP_3)
	v_mul_u32_u24_e32 v7, 0xadc8, v4
	v_mul_u32_u24_e32 v9, 0xd47, v4
	v_cvt_f32_u32_e32 v4, v3
	v_sub_nc_u32_e32 v7, v6, v7
	s_delay_alu instid0(VALU_DEP_3) | instskip(SKIP_1) | instid1(VALU_DEP_3)
	v_xor_b32_e32 v3, 0x7fffffff, v9
	v_dual_sub_nc_u32 v15, 0, v9 :: v_dual_add_nc_u32 v6, -1, v6
	v_mul_lo_u32 v7, 0xbc8f, v7
	s_delay_alu instid0(VALU_DEP_2) | instskip(NEXT) | instid1(VALU_DEP_2)
	v_cvt_f32_u32_e32 v6, v6
	v_cmp_lt_u32_e32 vcc_lo, v7, v9
	s_delay_alu instid0(VALU_DEP_4) | instskip(NEXT) | instid1(VALU_DEP_1)
	v_dual_add_nc_u32 v5, -1, v5 :: v_dual_cndmask_b32 v3, v15, v3, vcc_lo
	v_cvt_f32_u32_e32 v5, v5
	s_delay_alu instid0(VALU_DEP_2) | instskip(NEXT) | instid1(VALU_DEP_2)
	v_add_nc_u32_e32 v3, v3, v7
	v_pk_fma_f32 v[4:5], v[4:5], s[2:3], 0 op_sel_hi:[1,0,0]
	s_delay_alu instid0(VALU_DEP_1) | instskip(NEXT) | instid1(VALU_DEP_1)
	v_pk_mul_f32 v[4:5], v[4:5], v[4:5]
	v_dual_add_nc_u32 v7, -1, v3 :: v_dual_add_f32 v9, v4, v5
	s_delay_alu instid0(VALU_DEP_1) | instskip(NEXT) | instid1(VALU_DEP_2)
	v_cvt_f32_u32_e32 v7, v7
	v_cmp_gt_f32_e32 vcc_lo, 0xf800000, v9
	s_delay_alu instid0(VALU_DEP_2) | instskip(SKIP_1) | instid1(SALU_CYCLE_1)
	v_pk_fma_f32 v[4:5], v[6:7], s[2:3], 0 op_sel_hi:[1,0,0]
	s_add_co_i32 s3, s3, -2
	s_cmp_lg_u32 s3, 0
	s_delay_alu instid0(VALU_DEP_1) | instskip(NEXT) | instid1(VALU_DEP_1)
	v_pk_mul_f32 v[4:5], v[4:5], v[4:5]
	v_add_f32_e32 v4, v4, v5
	s_delay_alu instid0(VALU_DEP_1) | instskip(NEXT) | instid1(VALU_DEP_1)
	v_dual_mul_f32 v6, 0x4f800000, v9 :: v_dual_mul_f32 v7, 0x4f800000, v4
	v_cndmask_b32_e32 v6, v9, v6, vcc_lo
	v_cmp_gt_f32_e64 s0, 0xf800000, v4
	s_delay_alu instid0(VALU_DEP_2) | instskip(SKIP_1) | instid1(TRANS32_DEP_1)
	v_sqrt_f32_e32 v5, v6
	v_nop
	v_dual_add_nc_u32 v9, -1, v5 :: v_dual_cndmask_b32 v4, v4, v7, s0
	s_delay_alu instid0(VALU_DEP_1) | instskip(NEXT) | instid1(VALU_DEP_2)
	v_dual_add_nc_u32 v7, 1, v5 :: v_dual_fma_f32 v15, -v9, v5, v6
	v_sqrt_f32_e32 v16, v4
	s_delay_alu instid0(VALU_DEP_1) | instskip(NEXT) | instid1(VALU_DEP_2)
	v_fma_f32 v17, -v7, v5, v6
	v_cmp_ge_f32_e64 s1, 0, v15
	s_delay_alu instid0(TRANS32_DEP_1) | instid1(VALU_DEP_1)
	v_dual_cndmask_b32 v5, v5, v9, s1 :: v_dual_add_nc_u32 v9, -1, v16
	s_delay_alu instid0(VALU_DEP_3) | instskip(NEXT) | instid1(VALU_DEP_2)
	v_cmp_lt_f32_e64 s1, 0, v17
	v_fma_f32 v15, -v9, v16, v4
	s_delay_alu instid0(VALU_DEP_2) | instskip(NEXT) | instid1(VALU_DEP_2)
	v_dual_cndmask_b32 v5, v5, v7, s1 :: v_dual_add_nc_u32 v7, 1, v16
	v_cmp_ge_f32_e64 s1, 0, v15
	s_delay_alu instid0(VALU_DEP_1) | instskip(NEXT) | instid1(VALU_DEP_1)
	v_dual_fma_f32 v22, -v7, v16, v4 :: v_dual_cndmask_b32 v9, v16, v9, s1
	v_cmp_lt_f32_e64 s1, 0, v22
	s_delay_alu instid0(VALU_DEP_1) | instskip(SKIP_1) | instid1(VALU_DEP_1)
	v_cndmask_b32_e64 v7, v9, v7, s1
	v_mul_f32_e32 v17, 0x37800000, v5
	v_cndmask_b32_e32 v5, v5, v17, vcc_lo
	v_cmp_class_f32_e64 vcc_lo, v6, 0x260
	s_delay_alu instid0(VALU_DEP_2) | instskip(NEXT) | instid1(VALU_DEP_1)
	v_cndmask_b32_e32 v5, v5, v6, vcc_lo
	v_cmp_nge_f32_e32 vcc_lo, 1.0, v5
	v_dual_cndmask_b32 v5, v8, v14 :: v_dual_mul_f32 v6, 0x37800000, v7
	v_cmp_class_f32_e64 vcc_lo, v4, 0x260
	s_delay_alu instid0(VALU_DEP_2) | instskip(NEXT) | instid1(VALU_DEP_1)
	v_dual_cndmask_b32 v6, v7, v6, s0 :: v_dual_add_f32 v7, 1.0, v5
	v_cndmask_b32_e32 v4, v6, v4, vcc_lo
	s_delay_alu instid0(VALU_DEP_1) | instskip(NEXT) | instid1(VALU_DEP_3)
	v_cmp_nge_f32_e32 vcc_lo, 1.0, v4
	v_cndmask_b32_e32 v14, v7, v5, vcc_lo
	s_cbranch_scc1 .LBB27_241
; %bb.242:
	v_dual_mov_b32 v3, 1 :: v_dual_add_nc_u32 v4, 0x61a800, v2
	s_mov_b32 s1, 0
	s_mov_b32 s12, exec_lo
	s_delay_alu instid0(VALU_DEP_1)
	v_cmpx_ne_u32_e32 0, v4
	s_cbranch_execz .LBB27_264
; %bb.243:
	v_mov_b32_e32 v5, 0
	v_mov_b64_e32 v[8:9], 1
	s_mov_b64 s[8:9], 0xbc8f
	s_mov_b64 s[2:3], 0xfffffffd
	;; [unrolled: 1-line block ×3, first 2 shown]
	v_mov_b64_e32 v[6:7], v[4:5]
	s_mov_b64 s[6:7], 0x80000001
	s_mov_b32 s13, 0
	s_branch .LBB27_245
.LBB27_244:                             ;   in Loop: Header=BB27_245 Depth=1
	s_or_b32 exec_lo, exec_lo, s0
	s_mul_u64 s[8:9], s[8:9], s[8:9]
	s_mov_b32 s15, s1
	s_and_b64 s[16:17], s[8:9], s[2:3]
	s_mov_b32 s0, s9
	s_mul_u64 s[20:21], s[16:17], 3
	s_mul_u64 s[22:23], s[0:1], 3
	s_mov_b32 s14, s21
	s_mul_u64 s[16:17], s[16:17], s[6:7]
	s_add_nc_u64 s[14:15], s[22:23], s[14:15]
	v_lshrrev_b64 v[16:17], 1, v[6:7]
	s_and_b64 s[22:23], s[14:15], s[4:5]
	s_mov_b32 s21, s1
	s_add_nc_u64 s[16:17], s[16:17], s[22:23]
	s_mov_b32 s25, s1
	s_mov_b32 s20, s15
	;; [unrolled: 1-line block ×3, first 2 shown]
	s_mul_u64 s[16:17], s[0:1], s[6:7]
	s_add_nc_u64 s[14:15], s[20:21], s[24:25]
	v_cmp_gt_u64_e32 vcc_lo, 2, v[6:7]
	s_add_nc_u64 s[14:15], s[16:17], s[14:15]
	v_mov_b64_e32 v[6:7], v[16:17]
	s_lshr_b64 s[14:15], s[14:15], 30
	s_delay_alu instid0(SALU_CYCLE_1)
	s_mul_u64 s[14:15], s[14:15], 0x7fffffff
	s_or_b32 s13, vcc_lo, s13
	s_sub_nc_u64 s[8:9], s[8:9], s[14:15]
	s_and_not1_b32 exec_lo, exec_lo, s13
	s_cbranch_execz .LBB27_263
.LBB27_245:                             ; =>This Inner Loop Header: Depth=1
	s_delay_alu instid0(VALU_DEP_1) | instskip(SKIP_1) | instid1(VALU_DEP_1)
	v_and_b32_e32 v3, 1, v6
	s_mov_b32 s0, exec_lo
	v_cmpx_eq_u32_e32 1, v3
	s_cbranch_execz .LBB27_244
; %bb.246:                              ;   in Loop: Header=BB27_245 Depth=1
	v_mul_u64_e32 v[8:9], s[8:9], v[8:9]
	s_delay_alu instid0(VALU_DEP_1) | instskip(NEXT) | instid1(VALU_DEP_1)
	v_mov_b32_e32 v4, v8
	v_mul_u64_e32 v[16:17], 5, v[4:5]
	s_delay_alu instid0(VALU_DEP_1) | instskip(NEXT) | instid1(VALU_DEP_1)
	v_mov_b32_e32 v4, v17
	v_mad_nc_u64_u32 v[16:17], v9, 5, v[4:5]
	s_delay_alu instid0(VALU_DEP_1) | instskip(NEXT) | instid1(VALU_DEP_1)
	v_dual_mov_b32 v4, v17 :: v_dual_mov_b32 v17, v5
	v_mad_nc_u64_u32 v[16:17], v8, 2, v[16:17]
	s_delay_alu instid0(VALU_DEP_1) | instskip(NEXT) | instid1(VALU_DEP_1)
	v_dual_mov_b32 v16, v17 :: v_dual_mov_b32 v17, v5
	v_add_nc_u64_e32 v[16:17], v[4:5], v[16:17]
	s_delay_alu instid0(VALU_DEP_1) | instskip(NEXT) | instid1(VALU_DEP_1)
	v_mad_nc_u64_u32 v[16:17], v9, 2, v[16:17]
	v_sub_nc_u64_e32 v[22:23], v[8:9], v[16:17]
	s_delay_alu instid0(VALU_DEP_1) | instskip(NEXT) | instid1(VALU_DEP_1)
	v_lshrrev_b64 v[22:23], 1, v[22:23]
	v_add_nc_u64_e32 v[16:17], v[22:23], v[16:17]
	s_delay_alu instid0(VALU_DEP_1) | instskip(NEXT) | instid1(VALU_DEP_1)
	v_lshrrev_b64 v[16:17], 30, v[16:17]
	v_mul_u64_e32 v[16:17], 0x7fffffff, v[16:17]
	s_delay_alu instid0(VALU_DEP_1)
	v_sub_nc_u64_e32 v[8:9], v[8:9], v[16:17]
	s_branch .LBB27_244
.LBB27_247:
	s_or_b32 exec_lo, exec_lo, s13
	v_add_min_u32_e64 v1, 0x80000001, v6, v6
	s_delay_alu instid0(VALU_DEP_1)
	v_add_min_u32_e64 v1, 0x80000001, v1, v1
.LBB27_248:
	s_or_b32 exec_lo, exec_lo, s12
	v_mov_b32_e32 v12, 0
	s_movk_i32 s3, 0x1388
	s_brev_b32 s2, 12
.LBB27_249:                             ; =>This Inner Loop Header: Depth=1
	v_mul_hi_u32 v2, 0xbc8f1391, v1
	s_delay_alu instid0(VALU_DEP_1) | instskip(NEXT) | instid1(VALU_DEP_1)
	v_lshrrev_b32_e32 v2, 15, v2
	v_mul_u32_u24_e32 v3, 0xadc8, v2
	s_delay_alu instid0(VALU_DEP_1) | instskip(SKIP_1) | instid1(VALU_DEP_2)
	v_sub_nc_u32_e32 v1, v1, v3
	v_mul_u32_u24_e32 v2, 0xd47, v2
	v_mul_lo_u32 v1, 0xbc8f, v1
	s_delay_alu instid0(VALU_DEP_2) | instskip(SKIP_1) | instid1(VALU_DEP_3)
	v_xor_b32_e32 v3, 0x7fffffff, v2
	v_sub_nc_u32_e32 v4, 0, v2
	v_cmp_lt_u32_e32 vcc_lo, v1, v2
	s_delay_alu instid0(VALU_DEP_2) | instskip(NEXT) | instid1(VALU_DEP_1)
	v_cndmask_b32_e32 v2, v4, v3, vcc_lo
	v_add_nc_u32_e32 v1, v2, v1
	s_delay_alu instid0(VALU_DEP_1) | instskip(NEXT) | instid1(VALU_DEP_1)
	v_mul_hi_u32 v2, 0xbc8f1391, v1
	v_lshrrev_b32_e32 v2, 15, v2
	s_delay_alu instid0(VALU_DEP_1) | instskip(SKIP_1) | instid1(VALU_DEP_2)
	v_mul_u32_u24_e32 v3, 0xadc8, v2
	v_mul_u32_u24_e32 v2, 0xd47, v2
	v_sub_nc_u32_e32 v3, v1, v3
	s_delay_alu instid0(VALU_DEP_2) | instskip(SKIP_1) | instid1(VALU_DEP_3)
	v_xor_b32_e32 v4, 0x7fffffff, v2
	v_add_nc_u32_e32 v1, -1, v1
	v_mul_lo_u32 v3, 0xbc8f, v3
	v_sub_nc_u32_e32 v5, 0, v2
	s_delay_alu instid0(VALU_DEP_2) | instskip(NEXT) | instid1(VALU_DEP_2)
	v_cmp_lt_u32_e32 vcc_lo, v3, v2
	v_cndmask_b32_e32 v2, v5, v4, vcc_lo
	s_delay_alu instid0(VALU_DEP_1) | instskip(NEXT) | instid1(VALU_DEP_1)
	v_add_nc_u32_e32 v3, v2, v3
	v_mul_hi_u32 v2, 0xbc8f1391, v3
	s_delay_alu instid0(VALU_DEP_1) | instskip(NEXT) | instid1(VALU_DEP_1)
	v_lshrrev_b32_e32 v2, 15, v2
	v_mul_u32_u24_e32 v4, 0xadc8, v2
	v_mul_u32_u24_e32 v2, 0xd47, v2
	s_delay_alu instid0(VALU_DEP_2) | instskip(NEXT) | instid1(VALU_DEP_2)
	v_sub_nc_u32_e32 v4, v3, v4
	v_xor_b32_e32 v5, 0x7fffffff, v2
	s_delay_alu instid0(VALU_DEP_2) | instskip(SKIP_1) | instid1(VALU_DEP_2)
	v_mul_lo_u32 v4, 0xbc8f, v4
	v_sub_nc_u32_e32 v6, 0, v2
	v_cmp_lt_u32_e32 vcc_lo, v4, v2
	s_delay_alu instid0(VALU_DEP_2) | instskip(NEXT) | instid1(VALU_DEP_1)
	v_dual_cndmask_b32 v2, v6, v5, vcc_lo :: v_dual_add_f32 v6, 1.0, v12
	v_add_nc_u32_e32 v4, v2, v4
	s_delay_alu instid0(VALU_DEP_1) | instskip(NEXT) | instid1(VALU_DEP_1)
	v_mul_hi_u32 v2, 0xbc8f1391, v4
	v_lshrrev_b32_e32 v2, 15, v2
	s_delay_alu instid0(VALU_DEP_1) | instskip(SKIP_2) | instid1(VALU_DEP_3)
	v_mul_u32_u24_e32 v5, 0xadc8, v2
	v_mul_u32_u24_e32 v7, 0xd47, v2
	v_cvt_f32_u32_e32 v2, v1
	v_sub_nc_u32_e32 v5, v4, v5
	s_delay_alu instid0(VALU_DEP_3) | instskip(SKIP_1) | instid1(VALU_DEP_3)
	v_xor_b32_e32 v1, 0x7fffffff, v7
	v_dual_sub_nc_u32 v13, 0, v7 :: v_dual_add_nc_u32 v4, -1, v4
	v_mul_lo_u32 v5, 0xbc8f, v5
	s_delay_alu instid0(VALU_DEP_2) | instskip(NEXT) | instid1(VALU_DEP_2)
	v_cvt_f32_u32_e32 v4, v4
	v_cmp_lt_u32_e32 vcc_lo, v5, v7
	s_delay_alu instid0(VALU_DEP_4) | instskip(NEXT) | instid1(VALU_DEP_1)
	v_dual_add_nc_u32 v3, -1, v3 :: v_dual_cndmask_b32 v1, v13, v1, vcc_lo
	v_cvt_f32_u32_e32 v3, v3
	s_delay_alu instid0(VALU_DEP_2) | instskip(NEXT) | instid1(VALU_DEP_2)
	v_add_nc_u32_e32 v1, v1, v5
	v_pk_fma_f32 v[2:3], v[2:3], s[2:3], 0 op_sel_hi:[1,0,0]
	s_delay_alu instid0(VALU_DEP_1) | instskip(NEXT) | instid1(VALU_DEP_1)
	v_pk_mul_f32 v[2:3], v[2:3], v[2:3]
	v_dual_add_nc_u32 v5, -1, v1 :: v_dual_add_f32 v7, v2, v3
	s_delay_alu instid0(VALU_DEP_1) | instskip(NEXT) | instid1(VALU_DEP_2)
	v_cvt_f32_u32_e32 v5, v5
	v_cmp_gt_f32_e32 vcc_lo, 0xf800000, v7
	s_delay_alu instid0(VALU_DEP_2) | instskip(SKIP_1) | instid1(SALU_CYCLE_1)
	v_pk_fma_f32 v[2:3], v[4:5], s[2:3], 0 op_sel_hi:[1,0,0]
	s_add_co_i32 s3, s3, -2
	s_cmp_lg_u32 s3, 0
	s_delay_alu instid0(VALU_DEP_1) | instskip(NEXT) | instid1(VALU_DEP_1)
	v_pk_mul_f32 v[2:3], v[2:3], v[2:3]
	v_add_f32_e32 v2, v2, v3
	s_delay_alu instid0(VALU_DEP_1) | instskip(NEXT) | instid1(VALU_DEP_1)
	v_dual_mul_f32 v4, 0x4f800000, v7 :: v_dual_mul_f32 v5, 0x4f800000, v2
	v_cndmask_b32_e32 v4, v7, v4, vcc_lo
	v_cmp_gt_f32_e64 s0, 0xf800000, v2
	s_delay_alu instid0(VALU_DEP_2) | instskip(SKIP_1) | instid1(TRANS32_DEP_1)
	v_sqrt_f32_e32 v3, v4
	v_nop
	v_dual_add_nc_u32 v7, -1, v3 :: v_dual_cndmask_b32 v2, v2, v5, s0
	s_delay_alu instid0(VALU_DEP_1) | instskip(NEXT) | instid1(VALU_DEP_2)
	v_dual_add_nc_u32 v5, 1, v3 :: v_dual_fma_f32 v13, -v7, v3, v4
	v_sqrt_f32_e32 v14, v2
	s_delay_alu instid0(VALU_DEP_1) | instskip(NEXT) | instid1(VALU_DEP_2)
	v_fma_f32 v15, -v5, v3, v4
	v_cmp_ge_f32_e64 s1, 0, v13
	s_delay_alu instid0(TRANS32_DEP_1) | instid1(VALU_DEP_1)
	v_dual_cndmask_b32 v3, v3, v7, s1 :: v_dual_add_nc_u32 v7, -1, v14
	s_delay_alu instid0(VALU_DEP_3) | instskip(NEXT) | instid1(VALU_DEP_2)
	v_cmp_lt_f32_e64 s1, 0, v15
	v_fma_f32 v13, -v7, v14, v2
	s_delay_alu instid0(VALU_DEP_2) | instskip(NEXT) | instid1(VALU_DEP_2)
	v_dual_cndmask_b32 v3, v3, v5, s1 :: v_dual_add_nc_u32 v5, 1, v14
	v_cmp_ge_f32_e64 s1, 0, v13
	s_delay_alu instid0(VALU_DEP_1) | instskip(NEXT) | instid1(VALU_DEP_1)
	v_dual_fma_f32 v16, -v5, v14, v2 :: v_dual_cndmask_b32 v7, v14, v7, s1
	v_cmp_lt_f32_e64 s1, 0, v16
	s_delay_alu instid0(VALU_DEP_1) | instskip(SKIP_1) | instid1(VALU_DEP_1)
	v_cndmask_b32_e64 v5, v7, v5, s1
	v_mul_f32_e32 v15, 0x37800000, v3
	v_cndmask_b32_e32 v3, v3, v15, vcc_lo
	v_cmp_class_f32_e64 vcc_lo, v4, 0x260
	s_delay_alu instid0(VALU_DEP_2) | instskip(NEXT) | instid1(VALU_DEP_1)
	v_cndmask_b32_e32 v3, v3, v4, vcc_lo
	v_cmp_nge_f32_e32 vcc_lo, 1.0, v3
	v_dual_cndmask_b32 v3, v6, v12 :: v_dual_mul_f32 v4, 0x37800000, v5
	v_cmp_class_f32_e64 vcc_lo, v2, 0x260
	s_delay_alu instid0(VALU_DEP_2) | instskip(NEXT) | instid1(VALU_DEP_1)
	v_dual_cndmask_b32 v4, v5, v4, s0 :: v_dual_add_f32 v5, 1.0, v3
	v_cndmask_b32_e32 v2, v4, v2, vcc_lo
	s_delay_alu instid0(VALU_DEP_1) | instskip(NEXT) | instid1(VALU_DEP_3)
	v_cmp_nge_f32_e32 vcc_lo, 1.0, v2
	v_cndmask_b32_e32 v12, v5, v3, vcc_lo
	s_cbranch_scc1 .LBB27_249
; %bb.250:
	v_dual_mov_b32 v1, 1 :: v_dual_add_nc_u32 v2, 0x61a800, v0
	s_mov_b32 s1, 0
	s_mov_b32 s12, exec_lo
	s_delay_alu instid0(VALU_DEP_1)
	v_cmpx_ne_u32_e32 0, v2
	s_cbranch_execz .LBB27_272
; %bb.251:
	v_mov_b32_e32 v3, 0
	v_mov_b64_e32 v[6:7], 1
	s_mov_b64 s[8:9], 0xbc8f
	s_mov_b64 s[2:3], 0xfffffffd
	;; [unrolled: 1-line block ×3, first 2 shown]
	v_mov_b64_e32 v[4:5], v[2:3]
	s_mov_b64 s[6:7], 0x80000001
	s_mov_b32 s13, 0
	s_branch .LBB27_253
.LBB27_252:                             ;   in Loop: Header=BB27_253 Depth=1
	s_or_b32 exec_lo, exec_lo, s0
	s_mul_u64 s[8:9], s[8:9], s[8:9]
	s_mov_b32 s15, s1
	s_and_b64 s[16:17], s[8:9], s[2:3]
	s_mov_b32 s0, s9
	s_mul_u64 s[18:19], s[16:17], 3
	s_mul_u64 s[20:21], s[0:1], 3
	s_mov_b32 s14, s19
	s_mul_u64 s[16:17], s[16:17], s[6:7]
	s_add_nc_u64 s[14:15], s[20:21], s[14:15]
	v_lshrrev_b64 v[14:15], 1, v[4:5]
	s_and_b64 s[20:21], s[14:15], s[4:5]
	s_mov_b32 s19, s1
	s_add_nc_u64 s[16:17], s[16:17], s[20:21]
	s_mov_b32 s23, s1
	s_mov_b32 s18, s15
	;; [unrolled: 1-line block ×3, first 2 shown]
	s_mul_u64 s[16:17], s[0:1], s[6:7]
	s_add_nc_u64 s[14:15], s[18:19], s[22:23]
	v_cmp_gt_u64_e32 vcc_lo, 2, v[4:5]
	s_add_nc_u64 s[14:15], s[16:17], s[14:15]
	v_mov_b64_e32 v[4:5], v[14:15]
	s_lshr_b64 s[14:15], s[14:15], 30
	s_delay_alu instid0(SALU_CYCLE_1)
	s_mul_u64 s[14:15], s[14:15], 0x7fffffff
	s_or_b32 s13, vcc_lo, s13
	s_sub_nc_u64 s[8:9], s[8:9], s[14:15]
	s_and_not1_b32 exec_lo, exec_lo, s13
	s_cbranch_execz .LBB27_271
.LBB27_253:                             ; =>This Inner Loop Header: Depth=1
	s_delay_alu instid0(VALU_DEP_1) | instskip(SKIP_1) | instid1(VALU_DEP_1)
	v_and_b32_e32 v1, 1, v4
	s_mov_b32 s0, exec_lo
	v_cmpx_eq_u32_e32 1, v1
	s_cbranch_execz .LBB27_252
; %bb.254:                              ;   in Loop: Header=BB27_253 Depth=1
	v_mul_u64_e32 v[6:7], s[8:9], v[6:7]
	s_delay_alu instid0(VALU_DEP_1) | instskip(NEXT) | instid1(VALU_DEP_1)
	v_mov_b32_e32 v2, v6
	v_mul_u64_e32 v[14:15], 5, v[2:3]
	s_delay_alu instid0(VALU_DEP_1) | instskip(NEXT) | instid1(VALU_DEP_1)
	v_mov_b32_e32 v2, v15
	v_mad_nc_u64_u32 v[14:15], v7, 5, v[2:3]
	s_delay_alu instid0(VALU_DEP_1) | instskip(NEXT) | instid1(VALU_DEP_1)
	v_dual_mov_b32 v2, v15 :: v_dual_mov_b32 v15, v3
	v_mad_nc_u64_u32 v[14:15], v6, 2, v[14:15]
	s_delay_alu instid0(VALU_DEP_1) | instskip(NEXT) | instid1(VALU_DEP_1)
	v_dual_mov_b32 v14, v15 :: v_dual_mov_b32 v15, v3
	v_add_nc_u64_e32 v[14:15], v[2:3], v[14:15]
	s_delay_alu instid0(VALU_DEP_1) | instskip(NEXT) | instid1(VALU_DEP_1)
	v_mad_nc_u64_u32 v[14:15], v7, 2, v[14:15]
	v_sub_nc_u64_e32 v[16:17], v[6:7], v[14:15]
	s_delay_alu instid0(VALU_DEP_1) | instskip(NEXT) | instid1(VALU_DEP_1)
	v_lshrrev_b64 v[16:17], 1, v[16:17]
	v_add_nc_u64_e32 v[14:15], v[16:17], v[14:15]
	s_delay_alu instid0(VALU_DEP_1) | instskip(NEXT) | instid1(VALU_DEP_1)
	v_lshrrev_b64 v[14:15], 30, v[14:15]
	v_mul_u64_e32 v[14:15], 0x7fffffff, v[14:15]
	s_delay_alu instid0(VALU_DEP_1)
	v_sub_nc_u64_e32 v[6:7], v[6:7], v[14:15]
	s_branch .LBB27_252
.LBB27_255:
	s_or_b32 exec_lo, exec_lo, s15
	v_add_min_u32_e64 v3, 0x80000001, v8, v8
	s_delay_alu instid0(VALU_DEP_1)
	v_add_min_u32_e64 v3, 0x80000001, v3, v3
.LBB27_256:
	s_or_b32 exec_lo, exec_lo, s14
	v_mov_b32_e32 v19, 0
	s_movk_i32 s3, 0x1388
	s_brev_b32 s2, 12
.LBB27_257:                             ; =>This Inner Loop Header: Depth=1
	v_mul_hi_u32 v4, 0xbc8f1391, v3
	s_delay_alu instid0(VALU_DEP_1) | instskip(NEXT) | instid1(VALU_DEP_1)
	v_lshrrev_b32_e32 v4, 15, v4
	v_mul_u32_u24_e32 v5, 0xadc8, v4
	s_delay_alu instid0(VALU_DEP_1) | instskip(SKIP_1) | instid1(VALU_DEP_2)
	v_sub_nc_u32_e32 v3, v3, v5
	v_mul_u32_u24_e32 v4, 0xd47, v4
	v_mul_lo_u32 v3, 0xbc8f, v3
	s_delay_alu instid0(VALU_DEP_2) | instskip(SKIP_1) | instid1(VALU_DEP_3)
	v_xor_b32_e32 v5, 0x7fffffff, v4
	v_sub_nc_u32_e32 v6, 0, v4
	v_cmp_lt_u32_e32 vcc_lo, v3, v4
	s_delay_alu instid0(VALU_DEP_2) | instskip(NEXT) | instid1(VALU_DEP_1)
	v_cndmask_b32_e32 v4, v6, v5, vcc_lo
	v_add_nc_u32_e32 v3, v4, v3
	s_delay_alu instid0(VALU_DEP_1) | instskip(NEXT) | instid1(VALU_DEP_1)
	v_mul_hi_u32 v4, 0xbc8f1391, v3
	v_lshrrev_b32_e32 v4, 15, v4
	s_delay_alu instid0(VALU_DEP_1) | instskip(SKIP_1) | instid1(VALU_DEP_2)
	v_mul_u32_u24_e32 v5, 0xadc8, v4
	v_mul_u32_u24_e32 v4, 0xd47, v4
	v_sub_nc_u32_e32 v5, v3, v5
	s_delay_alu instid0(VALU_DEP_2) | instskip(SKIP_1) | instid1(VALU_DEP_3)
	v_xor_b32_e32 v6, 0x7fffffff, v4
	v_add_nc_u32_e32 v3, -1, v3
	v_mul_lo_u32 v5, 0xbc8f, v5
	v_sub_nc_u32_e32 v7, 0, v4
	s_delay_alu instid0(VALU_DEP_2) | instskip(NEXT) | instid1(VALU_DEP_2)
	v_cmp_lt_u32_e32 vcc_lo, v5, v4
	v_cndmask_b32_e32 v4, v7, v6, vcc_lo
	s_delay_alu instid0(VALU_DEP_1) | instskip(NEXT) | instid1(VALU_DEP_1)
	v_add_nc_u32_e32 v5, v4, v5
	v_mul_hi_u32 v4, 0xbc8f1391, v5
	s_delay_alu instid0(VALU_DEP_1) | instskip(NEXT) | instid1(VALU_DEP_1)
	v_lshrrev_b32_e32 v4, 15, v4
	v_mul_u32_u24_e32 v6, 0xadc8, v4
	v_mul_u32_u24_e32 v4, 0xd47, v4
	s_delay_alu instid0(VALU_DEP_2) | instskip(NEXT) | instid1(VALU_DEP_2)
	v_sub_nc_u32_e32 v6, v5, v6
	v_xor_b32_e32 v7, 0x7fffffff, v4
	s_delay_alu instid0(VALU_DEP_2) | instskip(SKIP_1) | instid1(VALU_DEP_2)
	v_mul_lo_u32 v6, 0xbc8f, v6
	v_sub_nc_u32_e32 v8, 0, v4
	v_cmp_lt_u32_e32 vcc_lo, v6, v4
	s_delay_alu instid0(VALU_DEP_2) | instskip(NEXT) | instid1(VALU_DEP_1)
	v_cndmask_b32_e32 v4, v8, v7, vcc_lo
	v_dual_add_f32 v8, 1.0, v19 :: v_dual_add_nc_u32 v6, v4, v6
	s_delay_alu instid0(VALU_DEP_1) | instskip(NEXT) | instid1(VALU_DEP_1)
	v_mul_hi_u32 v4, 0xbc8f1391, v6
	v_lshrrev_b32_e32 v4, 15, v4
	s_delay_alu instid0(VALU_DEP_1) | instskip(SKIP_2) | instid1(VALU_DEP_3)
	v_mul_u32_u24_e32 v7, 0xadc8, v4
	v_mul_u32_u24_e32 v9, 0xd47, v4
	v_cvt_f32_u32_e32 v4, v3
	v_sub_nc_u32_e32 v7, v6, v7
	s_delay_alu instid0(VALU_DEP_3) | instskip(SKIP_1) | instid1(VALU_DEP_3)
	v_xor_b32_e32 v3, 0x7fffffff, v9
	v_dual_sub_nc_u32 v21, 0, v9 :: v_dual_add_nc_u32 v6, -1, v6
	v_mul_lo_u32 v7, 0xbc8f, v7
	s_delay_alu instid0(VALU_DEP_2) | instskip(NEXT) | instid1(VALU_DEP_2)
	v_cvt_f32_u32_e32 v6, v6
	v_cmp_lt_u32_e32 vcc_lo, v7, v9
	s_delay_alu instid0(VALU_DEP_4) | instskip(NEXT) | instid1(VALU_DEP_1)
	v_dual_add_nc_u32 v5, -1, v5 :: v_dual_cndmask_b32 v3, v21, v3, vcc_lo
	v_cvt_f32_u32_e32 v5, v5
	s_delay_alu instid0(VALU_DEP_2) | instskip(NEXT) | instid1(VALU_DEP_2)
	v_add_nc_u32_e32 v3, v3, v7
	v_pk_fma_f32 v[4:5], v[4:5], s[2:3], 0 op_sel_hi:[1,0,0]
	s_delay_alu instid0(VALU_DEP_1) | instskip(NEXT) | instid1(VALU_DEP_1)
	v_pk_mul_f32 v[4:5], v[4:5], v[4:5]
	v_dual_add_nc_u32 v7, -1, v3 :: v_dual_add_f32 v9, v4, v5
	s_delay_alu instid0(VALU_DEP_1) | instskip(NEXT) | instid1(VALU_DEP_2)
	v_cvt_f32_u32_e32 v7, v7
	v_cmp_gt_f32_e32 vcc_lo, 0xf800000, v9
	s_delay_alu instid0(VALU_DEP_2) | instskip(SKIP_1) | instid1(SALU_CYCLE_1)
	v_pk_fma_f32 v[4:5], v[6:7], s[2:3], 0 op_sel_hi:[1,0,0]
	s_add_co_i32 s3, s3, -2
	s_cmp_lg_u32 s3, 0
	s_delay_alu instid0(VALU_DEP_1) | instskip(NEXT) | instid1(VALU_DEP_1)
	v_pk_mul_f32 v[4:5], v[4:5], v[4:5]
	v_add_f32_e32 v4, v4, v5
	s_delay_alu instid0(VALU_DEP_1) | instskip(NEXT) | instid1(VALU_DEP_1)
	v_dual_mul_f32 v6, 0x4f800000, v9 :: v_dual_mul_f32 v7, 0x4f800000, v4
	v_cndmask_b32_e32 v6, v9, v6, vcc_lo
	v_cmp_gt_f32_e64 s0, 0xf800000, v4
	s_delay_alu instid0(VALU_DEP_2) | instskip(SKIP_1) | instid1(TRANS32_DEP_1)
	v_sqrt_f32_e32 v5, v6
	v_nop
	v_dual_add_nc_u32 v9, -1, v5 :: v_dual_cndmask_b32 v4, v4, v7, s0
	s_delay_alu instid0(VALU_DEP_1) | instskip(NEXT) | instid1(VALU_DEP_2)
	v_dual_add_nc_u32 v7, 1, v5 :: v_dual_fma_f32 v21, -v9, v5, v6
	v_sqrt_f32_e32 v22, v4
	s_delay_alu instid0(VALU_DEP_1) | instskip(NEXT) | instid1(VALU_DEP_2)
	v_fma_f32 v23, -v7, v5, v6
	v_cmp_ge_f32_e64 s1, 0, v21
	s_delay_alu instid0(TRANS32_DEP_1) | instid1(VALU_DEP_1)
	v_dual_cndmask_b32 v5, v5, v9, s1 :: v_dual_add_nc_u32 v9, -1, v22
	s_delay_alu instid0(VALU_DEP_3) | instskip(NEXT) | instid1(VALU_DEP_2)
	v_cmp_lt_f32_e64 s1, 0, v23
	v_fma_f32 v21, -v9, v22, v4
	s_delay_alu instid0(VALU_DEP_2) | instskip(NEXT) | instid1(VALU_DEP_2)
	v_dual_cndmask_b32 v5, v5, v7, s1 :: v_dual_add_nc_u32 v7, 1, v22
	v_cmp_ge_f32_e64 s1, 0, v21
	s_delay_alu instid0(VALU_DEP_1) | instskip(NEXT) | instid1(VALU_DEP_1)
	v_dual_fma_f32 v24, -v7, v22, v4 :: v_dual_cndmask_b32 v9, v22, v9, s1
	v_cmp_lt_f32_e64 s1, 0, v24
	s_delay_alu instid0(VALU_DEP_1) | instskip(SKIP_1) | instid1(VALU_DEP_1)
	v_cndmask_b32_e64 v7, v9, v7, s1
	v_mul_f32_e32 v23, 0x37800000, v5
	v_cndmask_b32_e32 v5, v5, v23, vcc_lo
	v_cmp_class_f32_e64 vcc_lo, v6, 0x260
	s_delay_alu instid0(VALU_DEP_2) | instskip(NEXT) | instid1(VALU_DEP_1)
	v_dual_cndmask_b32 v5, v5, v6 :: v_dual_mul_f32 v6, 0x37800000, v7
	v_cmp_nge_f32_e32 vcc_lo, 1.0, v5
	s_delay_alu instid0(VALU_DEP_2) | instskip(SKIP_1) | instid1(VALU_DEP_2)
	v_dual_cndmask_b32 v6, v7, v6, s0 :: v_dual_cndmask_b32 v5, v8, v19, vcc_lo
	v_cmp_class_f32_e64 vcc_lo, v4, 0x260
	v_dual_add_f32 v7, 1.0, v5 :: v_dual_cndmask_b32 v4, v6, v4
	s_delay_alu instid0(VALU_DEP_1) | instskip(NEXT) | instid1(VALU_DEP_2)
	v_cmp_nge_f32_e32 vcc_lo, 1.0, v4
	v_cndmask_b32_e32 v19, v7, v5, vcc_lo
	s_cbranch_scc1 .LBB27_257
; %bb.258:
	v_dual_mov_b32 v3, 1 :: v_dual_add_nc_u32 v4, 0x753000, v2
	s_mov_b32 s1, 0
	s_mov_b32 s14, exec_lo
	s_delay_alu instid0(VALU_DEP_1)
	v_cmpx_ne_u32_e32 0, v4
	s_cbranch_execz .LBB27_280
; %bb.259:
	v_mov_b32_e32 v5, 0
	v_mov_b64_e32 v[8:9], 1
	s_mov_b64 s[8:9], 0xbc8f
	s_mov_b64 s[2:3], 0xfffffffd
	;; [unrolled: 1-line block ×3, first 2 shown]
	v_mov_b64_e32 v[6:7], v[4:5]
	s_mov_b64 s[6:7], 0x80000001
	s_mov_b32 s15, 0
	s_branch .LBB27_261
.LBB27_260:                             ;   in Loop: Header=BB27_261 Depth=1
	s_or_b32 exec_lo, exec_lo, s0
	s_mul_u64 s[8:9], s[8:9], s[8:9]
	s_mov_b32 s17, s1
	s_and_b64 s[18:19], s[8:9], s[2:3]
	s_mov_b32 s0, s9
	s_mul_u64 s[22:23], s[18:19], 3
	s_mul_u64 s[24:25], s[0:1], 3
	s_mov_b32 s16, s23
	s_mul_u64 s[18:19], s[18:19], s[6:7]
	s_add_nc_u64 s[16:17], s[24:25], s[16:17]
	v_lshrrev_b64 v[22:23], 1, v[6:7]
	s_and_b64 s[24:25], s[16:17], s[4:5]
	s_mov_b32 s23, s1
	s_add_nc_u64 s[18:19], s[18:19], s[24:25]
	s_mov_b32 s27, s1
	s_mov_b32 s22, s17
	s_mov_b32 s26, s19
	s_mul_u64 s[18:19], s[0:1], s[6:7]
	s_add_nc_u64 s[16:17], s[22:23], s[26:27]
	v_cmp_gt_u64_e32 vcc_lo, 2, v[6:7]
	s_add_nc_u64 s[16:17], s[18:19], s[16:17]
	v_mov_b64_e32 v[6:7], v[22:23]
	s_lshr_b64 s[16:17], s[16:17], 30
	s_delay_alu instid0(SALU_CYCLE_1)
	s_mul_u64 s[16:17], s[16:17], 0x7fffffff
	s_or_b32 s15, vcc_lo, s15
	s_sub_nc_u64 s[8:9], s[8:9], s[16:17]
	s_and_not1_b32 exec_lo, exec_lo, s15
	s_cbranch_execz .LBB27_279
.LBB27_261:                             ; =>This Inner Loop Header: Depth=1
	s_delay_alu instid0(VALU_DEP_1) | instskip(SKIP_1) | instid1(VALU_DEP_1)
	v_and_b32_e32 v3, 1, v6
	s_mov_b32 s0, exec_lo
	v_cmpx_eq_u32_e32 1, v3
	s_cbranch_execz .LBB27_260
; %bb.262:                              ;   in Loop: Header=BB27_261 Depth=1
	v_mul_u64_e32 v[8:9], s[8:9], v[8:9]
	s_delay_alu instid0(VALU_DEP_1) | instskip(NEXT) | instid1(VALU_DEP_1)
	v_mov_b32_e32 v4, v8
	v_mul_u64_e32 v[22:23], 5, v[4:5]
	s_delay_alu instid0(VALU_DEP_1) | instskip(NEXT) | instid1(VALU_DEP_1)
	v_mov_b32_e32 v4, v23
	v_mad_nc_u64_u32 v[22:23], v9, 5, v[4:5]
	s_delay_alu instid0(VALU_DEP_1) | instskip(NEXT) | instid1(VALU_DEP_1)
	v_dual_mov_b32 v4, v23 :: v_dual_mov_b32 v23, v5
	v_mad_nc_u64_u32 v[22:23], v8, 2, v[22:23]
	s_delay_alu instid0(VALU_DEP_1) | instskip(NEXT) | instid1(VALU_DEP_1)
	v_dual_mov_b32 v22, v23 :: v_dual_mov_b32 v23, v5
	v_add_nc_u64_e32 v[22:23], v[4:5], v[22:23]
	s_delay_alu instid0(VALU_DEP_1) | instskip(NEXT) | instid1(VALU_DEP_1)
	v_mad_nc_u64_u32 v[22:23], v9, 2, v[22:23]
	v_sub_nc_u64_e32 v[24:25], v[8:9], v[22:23]
	s_delay_alu instid0(VALU_DEP_1) | instskip(NEXT) | instid1(VALU_DEP_1)
	v_lshrrev_b64 v[24:25], 1, v[24:25]
	v_add_nc_u64_e32 v[22:23], v[24:25], v[22:23]
	s_delay_alu instid0(VALU_DEP_1) | instskip(NEXT) | instid1(VALU_DEP_1)
	v_lshrrev_b64 v[22:23], 30, v[22:23]
	v_mul_u64_e32 v[22:23], 0x7fffffff, v[22:23]
	s_delay_alu instid0(VALU_DEP_1)
	v_sub_nc_u64_e32 v[8:9], v[8:9], v[22:23]
	s_branch .LBB27_260
.LBB27_263:
	s_or_b32 exec_lo, exec_lo, s13
	v_add_min_u32_e64 v3, 0x80000001, v8, v8
	s_delay_alu instid0(VALU_DEP_1)
	v_add_min_u32_e64 v3, 0x80000001, v3, v3
.LBB27_264:
	s_or_b32 exec_lo, exec_lo, s12
	v_mov_b32_e32 v15, 0
	s_movk_i32 s3, 0x1388
	s_brev_b32 s2, 12
.LBB27_265:                             ; =>This Inner Loop Header: Depth=1
	v_mul_hi_u32 v4, 0xbc8f1391, v3
	s_delay_alu instid0(VALU_DEP_1) | instskip(NEXT) | instid1(VALU_DEP_1)
	v_lshrrev_b32_e32 v4, 15, v4
	v_mul_u32_u24_e32 v5, 0xadc8, v4
	s_delay_alu instid0(VALU_DEP_1) | instskip(SKIP_1) | instid1(VALU_DEP_2)
	v_sub_nc_u32_e32 v3, v3, v5
	v_mul_u32_u24_e32 v4, 0xd47, v4
	v_mul_lo_u32 v3, 0xbc8f, v3
	s_delay_alu instid0(VALU_DEP_2) | instskip(SKIP_1) | instid1(VALU_DEP_3)
	v_xor_b32_e32 v5, 0x7fffffff, v4
	v_sub_nc_u32_e32 v6, 0, v4
	v_cmp_lt_u32_e32 vcc_lo, v3, v4
	s_delay_alu instid0(VALU_DEP_2) | instskip(NEXT) | instid1(VALU_DEP_1)
	v_cndmask_b32_e32 v4, v6, v5, vcc_lo
	v_add_nc_u32_e32 v3, v4, v3
	s_delay_alu instid0(VALU_DEP_1) | instskip(NEXT) | instid1(VALU_DEP_1)
	v_mul_hi_u32 v4, 0xbc8f1391, v3
	v_lshrrev_b32_e32 v4, 15, v4
	s_delay_alu instid0(VALU_DEP_1) | instskip(SKIP_1) | instid1(VALU_DEP_2)
	v_mul_u32_u24_e32 v5, 0xadc8, v4
	v_mul_u32_u24_e32 v4, 0xd47, v4
	v_sub_nc_u32_e32 v5, v3, v5
	s_delay_alu instid0(VALU_DEP_2) | instskip(SKIP_1) | instid1(VALU_DEP_3)
	v_xor_b32_e32 v6, 0x7fffffff, v4
	v_add_nc_u32_e32 v3, -1, v3
	v_mul_lo_u32 v5, 0xbc8f, v5
	v_sub_nc_u32_e32 v7, 0, v4
	s_delay_alu instid0(VALU_DEP_2) | instskip(NEXT) | instid1(VALU_DEP_2)
	v_cmp_lt_u32_e32 vcc_lo, v5, v4
	v_cndmask_b32_e32 v4, v7, v6, vcc_lo
	s_delay_alu instid0(VALU_DEP_1) | instskip(NEXT) | instid1(VALU_DEP_1)
	v_add_nc_u32_e32 v5, v4, v5
	v_mul_hi_u32 v4, 0xbc8f1391, v5
	s_delay_alu instid0(VALU_DEP_1) | instskip(NEXT) | instid1(VALU_DEP_1)
	v_lshrrev_b32_e32 v4, 15, v4
	v_mul_u32_u24_e32 v6, 0xadc8, v4
	v_mul_u32_u24_e32 v4, 0xd47, v4
	s_delay_alu instid0(VALU_DEP_2) | instskip(NEXT) | instid1(VALU_DEP_2)
	v_sub_nc_u32_e32 v6, v5, v6
	v_xor_b32_e32 v7, 0x7fffffff, v4
	s_delay_alu instid0(VALU_DEP_2) | instskip(SKIP_1) | instid1(VALU_DEP_2)
	v_mul_lo_u32 v6, 0xbc8f, v6
	v_sub_nc_u32_e32 v8, 0, v4
	v_cmp_lt_u32_e32 vcc_lo, v6, v4
	s_delay_alu instid0(VALU_DEP_2) | instskip(NEXT) | instid1(VALU_DEP_1)
	v_cndmask_b32_e32 v4, v8, v7, vcc_lo
	v_dual_add_f32 v8, 1.0, v15 :: v_dual_add_nc_u32 v6, v4, v6
	s_delay_alu instid0(VALU_DEP_1) | instskip(NEXT) | instid1(VALU_DEP_1)
	v_mul_hi_u32 v4, 0xbc8f1391, v6
	v_lshrrev_b32_e32 v4, 15, v4
	s_delay_alu instid0(VALU_DEP_1) | instskip(SKIP_2) | instid1(VALU_DEP_3)
	v_mul_u32_u24_e32 v7, 0xadc8, v4
	v_mul_u32_u24_e32 v9, 0xd47, v4
	v_cvt_f32_u32_e32 v4, v3
	v_sub_nc_u32_e32 v7, v6, v7
	s_delay_alu instid0(VALU_DEP_3) | instskip(SKIP_1) | instid1(VALU_DEP_3)
	v_xor_b32_e32 v3, 0x7fffffff, v9
	v_dual_sub_nc_u32 v16, 0, v9 :: v_dual_add_nc_u32 v6, -1, v6
	v_mul_lo_u32 v7, 0xbc8f, v7
	s_delay_alu instid0(VALU_DEP_2) | instskip(NEXT) | instid1(VALU_DEP_2)
	v_cvt_f32_u32_e32 v6, v6
	v_cmp_lt_u32_e32 vcc_lo, v7, v9
	s_delay_alu instid0(VALU_DEP_4) | instskip(NEXT) | instid1(VALU_DEP_1)
	v_dual_add_nc_u32 v5, -1, v5 :: v_dual_cndmask_b32 v3, v16, v3, vcc_lo
	v_cvt_f32_u32_e32 v5, v5
	s_delay_alu instid0(VALU_DEP_2) | instskip(NEXT) | instid1(VALU_DEP_2)
	v_add_nc_u32_e32 v3, v3, v7
	v_pk_fma_f32 v[4:5], v[4:5], s[2:3], 0 op_sel_hi:[1,0,0]
	s_delay_alu instid0(VALU_DEP_1) | instskip(NEXT) | instid1(VALU_DEP_1)
	v_pk_mul_f32 v[4:5], v[4:5], v[4:5]
	v_dual_add_nc_u32 v7, -1, v3 :: v_dual_add_f32 v9, v4, v5
	s_delay_alu instid0(VALU_DEP_1) | instskip(NEXT) | instid1(VALU_DEP_2)
	v_cvt_f32_u32_e32 v7, v7
	v_cmp_gt_f32_e32 vcc_lo, 0xf800000, v9
	s_delay_alu instid0(VALU_DEP_2) | instskip(SKIP_1) | instid1(SALU_CYCLE_1)
	v_pk_fma_f32 v[4:5], v[6:7], s[2:3], 0 op_sel_hi:[1,0,0]
	s_add_co_i32 s3, s3, -2
	s_cmp_lg_u32 s3, 0
	s_delay_alu instid0(VALU_DEP_1) | instskip(NEXT) | instid1(VALU_DEP_1)
	v_pk_mul_f32 v[4:5], v[4:5], v[4:5]
	v_add_f32_e32 v4, v4, v5
	s_delay_alu instid0(VALU_DEP_1) | instskip(NEXT) | instid1(VALU_DEP_1)
	v_dual_mul_f32 v6, 0x4f800000, v9 :: v_dual_mul_f32 v7, 0x4f800000, v4
	v_cndmask_b32_e32 v6, v9, v6, vcc_lo
	v_cmp_gt_f32_e64 s0, 0xf800000, v4
	s_delay_alu instid0(VALU_DEP_2) | instskip(SKIP_1) | instid1(TRANS32_DEP_1)
	v_sqrt_f32_e32 v5, v6
	v_nop
	v_dual_add_nc_u32 v9, -1, v5 :: v_dual_cndmask_b32 v4, v4, v7, s0
	s_delay_alu instid0(VALU_DEP_1) | instskip(NEXT) | instid1(VALU_DEP_2)
	v_dual_add_nc_u32 v7, 1, v5 :: v_dual_fma_f32 v16, -v9, v5, v6
	v_sqrt_f32_e32 v17, v4
	s_delay_alu instid0(VALU_DEP_1) | instskip(NEXT) | instid1(VALU_DEP_2)
	v_fma_f32 v22, -v7, v5, v6
	v_cmp_ge_f32_e64 s1, 0, v16
	s_delay_alu instid0(VALU_DEP_1) | instskip(NEXT) | instid1(VALU_DEP_3)
	v_cndmask_b32_e64 v5, v5, v9, s1
	v_cmp_lt_f32_e64 s1, 0, v22
	s_delay_alu instid0(TRANS32_DEP_1) | instid1(VALU_DEP_1)
	v_dual_add_nc_u32 v9, -1, v17 :: v_dual_cndmask_b32 v5, v5, v7, s1
	s_delay_alu instid0(VALU_DEP_1) | instskip(NEXT) | instid1(VALU_DEP_2)
	v_dual_add_nc_u32 v7, 1, v17 :: v_dual_fma_f32 v16, -v9, v17, v4
	v_mul_f32_e32 v22, 0x37800000, v5
	s_delay_alu instid0(VALU_DEP_2) | instskip(NEXT) | instid1(VALU_DEP_3)
	v_fma_f32 v23, -v7, v17, v4
	v_cmp_ge_f32_e64 s1, 0, v16
	s_delay_alu instid0(VALU_DEP_3) | instskip(SKIP_1) | instid1(VALU_DEP_2)
	v_cndmask_b32_e32 v5, v5, v22, vcc_lo
	v_cmp_class_f32_e64 vcc_lo, v6, 0x260
	v_cndmask_b32_e32 v5, v5, v6, vcc_lo
	s_delay_alu instid0(VALU_DEP_1) | instskip(SKIP_4) | instid1(VALU_DEP_3)
	v_cmp_nge_f32_e32 vcc_lo, 1.0, v5
	v_cndmask_b32_e64 v9, v17, v9, s1
	v_cmp_lt_f32_e64 s1, 0, v23
	v_cndmask_b32_e32 v5, v8, v15, vcc_lo
	v_cmp_class_f32_e64 vcc_lo, v4, 0x260
	v_cndmask_b32_e64 v7, v9, v7, s1
	s_delay_alu instid0(VALU_DEP_1) | instskip(NEXT) | instid1(VALU_DEP_1)
	v_mul_f32_e32 v6, 0x37800000, v7
	v_dual_cndmask_b32 v6, v7, v6, s0 :: v_dual_add_f32 v7, 1.0, v5
	s_delay_alu instid0(VALU_DEP_1) | instskip(NEXT) | instid1(VALU_DEP_1)
	v_cndmask_b32_e32 v4, v6, v4, vcc_lo
	v_cmp_nge_f32_e32 vcc_lo, 1.0, v4
	s_delay_alu instid0(VALU_DEP_3)
	v_cndmask_b32_e32 v15, v7, v5, vcc_lo
	s_cbranch_scc1 .LBB27_265
; %bb.266:
	v_dual_mov_b32 v3, 1 :: v_dual_add_nc_u32 v4, 0x753000, v2
	s_mov_b32 s1, 0
	s_mov_b32 s12, exec_lo
	s_delay_alu instid0(VALU_DEP_1)
	v_cmpx_ne_u32_e32 0, v4
	s_cbranch_execz .LBB27_288
; %bb.267:
	v_mov_b32_e32 v5, 0
	v_mov_b64_e32 v[8:9], 1
	s_mov_b64 s[8:9], 0xbc8f
	s_mov_b64 s[2:3], 0xfffffffd
	;; [unrolled: 1-line block ×3, first 2 shown]
	v_mov_b64_e32 v[6:7], v[4:5]
	s_mov_b64 s[6:7], 0x80000001
	s_mov_b32 s13, 0
	s_branch .LBB27_269
.LBB27_268:                             ;   in Loop: Header=BB27_269 Depth=1
	s_or_b32 exec_lo, exec_lo, s0
	s_mul_u64 s[8:9], s[8:9], s[8:9]
	s_mov_b32 s15, s1
	s_and_b64 s[16:17], s[8:9], s[2:3]
	s_mov_b32 s0, s9
	s_mul_u64 s[20:21], s[16:17], 3
	s_mul_u64 s[22:23], s[0:1], 3
	s_mov_b32 s14, s21
	s_mul_u64 s[16:17], s[16:17], s[6:7]
	s_add_nc_u64 s[14:15], s[22:23], s[14:15]
	v_lshrrev_b64 v[16:17], 1, v[6:7]
	s_and_b64 s[22:23], s[14:15], s[4:5]
	s_mov_b32 s21, s1
	s_add_nc_u64 s[16:17], s[16:17], s[22:23]
	s_mov_b32 s25, s1
	s_mov_b32 s20, s15
	s_mov_b32 s24, s17
	s_mul_u64 s[16:17], s[0:1], s[6:7]
	s_add_nc_u64 s[14:15], s[20:21], s[24:25]
	v_cmp_gt_u64_e32 vcc_lo, 2, v[6:7]
	s_add_nc_u64 s[14:15], s[16:17], s[14:15]
	v_mov_b64_e32 v[6:7], v[16:17]
	s_lshr_b64 s[14:15], s[14:15], 30
	s_delay_alu instid0(SALU_CYCLE_1)
	s_mul_u64 s[14:15], s[14:15], 0x7fffffff
	s_or_b32 s13, vcc_lo, s13
	s_sub_nc_u64 s[8:9], s[8:9], s[14:15]
	s_and_not1_b32 exec_lo, exec_lo, s13
	s_cbranch_execz .LBB27_287
.LBB27_269:                             ; =>This Inner Loop Header: Depth=1
	s_delay_alu instid0(VALU_DEP_1) | instskip(SKIP_1) | instid1(VALU_DEP_1)
	v_and_b32_e32 v3, 1, v6
	s_mov_b32 s0, exec_lo
	v_cmpx_eq_u32_e32 1, v3
	s_cbranch_execz .LBB27_268
; %bb.270:                              ;   in Loop: Header=BB27_269 Depth=1
	v_mul_u64_e32 v[8:9], s[8:9], v[8:9]
	s_delay_alu instid0(VALU_DEP_1) | instskip(NEXT) | instid1(VALU_DEP_1)
	v_mov_b32_e32 v4, v8
	v_mul_u64_e32 v[16:17], 5, v[4:5]
	s_delay_alu instid0(VALU_DEP_1) | instskip(NEXT) | instid1(VALU_DEP_1)
	v_mov_b32_e32 v4, v17
	v_mad_nc_u64_u32 v[16:17], v9, 5, v[4:5]
	s_delay_alu instid0(VALU_DEP_1) | instskip(NEXT) | instid1(VALU_DEP_1)
	v_dual_mov_b32 v4, v17 :: v_dual_mov_b32 v17, v5
	v_mad_nc_u64_u32 v[16:17], v8, 2, v[16:17]
	s_delay_alu instid0(VALU_DEP_1) | instskip(NEXT) | instid1(VALU_DEP_1)
	v_dual_mov_b32 v16, v17 :: v_dual_mov_b32 v17, v5
	v_add_nc_u64_e32 v[16:17], v[4:5], v[16:17]
	s_delay_alu instid0(VALU_DEP_1) | instskip(NEXT) | instid1(VALU_DEP_1)
	v_mad_nc_u64_u32 v[16:17], v9, 2, v[16:17]
	v_sub_nc_u64_e32 v[22:23], v[8:9], v[16:17]
	s_delay_alu instid0(VALU_DEP_1) | instskip(NEXT) | instid1(VALU_DEP_1)
	v_lshrrev_b64 v[22:23], 1, v[22:23]
	v_add_nc_u64_e32 v[16:17], v[22:23], v[16:17]
	s_delay_alu instid0(VALU_DEP_1) | instskip(NEXT) | instid1(VALU_DEP_1)
	v_lshrrev_b64 v[16:17], 30, v[16:17]
	v_mul_u64_e32 v[16:17], 0x7fffffff, v[16:17]
	s_delay_alu instid0(VALU_DEP_1)
	v_sub_nc_u64_e32 v[8:9], v[8:9], v[16:17]
	s_branch .LBB27_268
.LBB27_271:
	s_or_b32 exec_lo, exec_lo, s13
	v_add_min_u32_e64 v1, 0x80000001, v6, v6
	s_delay_alu instid0(VALU_DEP_1)
	v_add_min_u32_e64 v1, 0x80000001, v1, v1
.LBB27_272:
	s_or_b32 exec_lo, exec_lo, s12
	v_mov_b32_e32 v13, 0
	s_movk_i32 s3, 0x1388
	s_brev_b32 s2, 12
.LBB27_273:                             ; =>This Inner Loop Header: Depth=1
	v_mul_hi_u32 v2, 0xbc8f1391, v1
	s_delay_alu instid0(VALU_DEP_1) | instskip(NEXT) | instid1(VALU_DEP_1)
	v_lshrrev_b32_e32 v2, 15, v2
	v_mul_u32_u24_e32 v3, 0xadc8, v2
	s_delay_alu instid0(VALU_DEP_1) | instskip(SKIP_1) | instid1(VALU_DEP_2)
	v_sub_nc_u32_e32 v1, v1, v3
	v_mul_u32_u24_e32 v2, 0xd47, v2
	v_mul_lo_u32 v1, 0xbc8f, v1
	s_delay_alu instid0(VALU_DEP_2) | instskip(SKIP_1) | instid1(VALU_DEP_3)
	v_xor_b32_e32 v3, 0x7fffffff, v2
	v_sub_nc_u32_e32 v4, 0, v2
	v_cmp_lt_u32_e32 vcc_lo, v1, v2
	s_delay_alu instid0(VALU_DEP_2) | instskip(NEXT) | instid1(VALU_DEP_1)
	v_cndmask_b32_e32 v2, v4, v3, vcc_lo
	v_add_nc_u32_e32 v1, v2, v1
	s_delay_alu instid0(VALU_DEP_1) | instskip(NEXT) | instid1(VALU_DEP_1)
	v_mul_hi_u32 v2, 0xbc8f1391, v1
	v_lshrrev_b32_e32 v2, 15, v2
	s_delay_alu instid0(VALU_DEP_1) | instskip(SKIP_1) | instid1(VALU_DEP_2)
	v_mul_u32_u24_e32 v3, 0xadc8, v2
	v_mul_u32_u24_e32 v2, 0xd47, v2
	v_sub_nc_u32_e32 v3, v1, v3
	s_delay_alu instid0(VALU_DEP_2) | instskip(SKIP_1) | instid1(VALU_DEP_3)
	v_xor_b32_e32 v4, 0x7fffffff, v2
	v_add_nc_u32_e32 v1, -1, v1
	v_mul_lo_u32 v3, 0xbc8f, v3
	v_sub_nc_u32_e32 v5, 0, v2
	s_delay_alu instid0(VALU_DEP_2) | instskip(NEXT) | instid1(VALU_DEP_2)
	v_cmp_lt_u32_e32 vcc_lo, v3, v2
	v_cndmask_b32_e32 v2, v5, v4, vcc_lo
	s_delay_alu instid0(VALU_DEP_1) | instskip(NEXT) | instid1(VALU_DEP_1)
	v_add_nc_u32_e32 v3, v2, v3
	v_mul_hi_u32 v2, 0xbc8f1391, v3
	s_delay_alu instid0(VALU_DEP_1) | instskip(NEXT) | instid1(VALU_DEP_1)
	v_lshrrev_b32_e32 v2, 15, v2
	v_mul_u32_u24_e32 v4, 0xadc8, v2
	v_mul_u32_u24_e32 v2, 0xd47, v2
	s_delay_alu instid0(VALU_DEP_2) | instskip(NEXT) | instid1(VALU_DEP_2)
	v_sub_nc_u32_e32 v4, v3, v4
	v_xor_b32_e32 v5, 0x7fffffff, v2
	s_delay_alu instid0(VALU_DEP_2) | instskip(SKIP_1) | instid1(VALU_DEP_2)
	v_mul_lo_u32 v4, 0xbc8f, v4
	v_sub_nc_u32_e32 v6, 0, v2
	v_cmp_lt_u32_e32 vcc_lo, v4, v2
	s_delay_alu instid0(VALU_DEP_2) | instskip(NEXT) | instid1(VALU_DEP_1)
	v_cndmask_b32_e32 v2, v6, v5, vcc_lo
	v_dual_add_f32 v6, 1.0, v13 :: v_dual_add_nc_u32 v4, v2, v4
	s_delay_alu instid0(VALU_DEP_1) | instskip(NEXT) | instid1(VALU_DEP_1)
	v_mul_hi_u32 v2, 0xbc8f1391, v4
	v_lshrrev_b32_e32 v2, 15, v2
	s_delay_alu instid0(VALU_DEP_1) | instskip(SKIP_2) | instid1(VALU_DEP_3)
	v_mul_u32_u24_e32 v5, 0xadc8, v2
	v_mul_u32_u24_e32 v7, 0xd47, v2
	v_cvt_f32_u32_e32 v2, v1
	v_sub_nc_u32_e32 v5, v4, v5
	s_delay_alu instid0(VALU_DEP_3) | instskip(SKIP_1) | instid1(VALU_DEP_3)
	v_xor_b32_e32 v1, 0x7fffffff, v7
	v_dual_sub_nc_u32 v14, 0, v7 :: v_dual_add_nc_u32 v4, -1, v4
	v_mul_lo_u32 v5, 0xbc8f, v5
	s_delay_alu instid0(VALU_DEP_2) | instskip(NEXT) | instid1(VALU_DEP_2)
	v_cvt_f32_u32_e32 v4, v4
	v_cmp_lt_u32_e32 vcc_lo, v5, v7
	s_delay_alu instid0(VALU_DEP_4) | instskip(NEXT) | instid1(VALU_DEP_1)
	v_dual_add_nc_u32 v3, -1, v3 :: v_dual_cndmask_b32 v1, v14, v1, vcc_lo
	v_cvt_f32_u32_e32 v3, v3
	s_delay_alu instid0(VALU_DEP_2) | instskip(NEXT) | instid1(VALU_DEP_2)
	v_add_nc_u32_e32 v1, v1, v5
	v_pk_fma_f32 v[2:3], v[2:3], s[2:3], 0 op_sel_hi:[1,0,0]
	s_delay_alu instid0(VALU_DEP_1) | instskip(NEXT) | instid1(VALU_DEP_1)
	v_pk_mul_f32 v[2:3], v[2:3], v[2:3]
	v_dual_add_nc_u32 v5, -1, v1 :: v_dual_add_f32 v7, v2, v3
	s_delay_alu instid0(VALU_DEP_1) | instskip(NEXT) | instid1(VALU_DEP_2)
	v_cvt_f32_u32_e32 v5, v5
	v_cmp_gt_f32_e32 vcc_lo, 0xf800000, v7
	s_delay_alu instid0(VALU_DEP_2) | instskip(SKIP_1) | instid1(SALU_CYCLE_1)
	v_pk_fma_f32 v[2:3], v[4:5], s[2:3], 0 op_sel_hi:[1,0,0]
	s_add_co_i32 s3, s3, -2
	s_cmp_lg_u32 s3, 0
	s_delay_alu instid0(VALU_DEP_1) | instskip(NEXT) | instid1(VALU_DEP_1)
	v_pk_mul_f32 v[2:3], v[2:3], v[2:3]
	v_add_f32_e32 v2, v2, v3
	s_delay_alu instid0(VALU_DEP_1) | instskip(NEXT) | instid1(VALU_DEP_1)
	v_dual_mul_f32 v4, 0x4f800000, v7 :: v_dual_mul_f32 v5, 0x4f800000, v2
	v_cndmask_b32_e32 v4, v7, v4, vcc_lo
	v_cmp_gt_f32_e64 s0, 0xf800000, v2
	s_delay_alu instid0(VALU_DEP_2) | instskip(SKIP_1) | instid1(TRANS32_DEP_1)
	v_sqrt_f32_e32 v3, v4
	v_nop
	v_dual_add_nc_u32 v7, -1, v3 :: v_dual_cndmask_b32 v2, v2, v5, s0
	s_delay_alu instid0(VALU_DEP_1) | instskip(NEXT) | instid1(VALU_DEP_2)
	v_dual_add_nc_u32 v5, 1, v3 :: v_dual_fma_f32 v14, -v7, v3, v4
	v_sqrt_f32_e32 v15, v2
	s_delay_alu instid0(VALU_DEP_1) | instskip(NEXT) | instid1(VALU_DEP_2)
	v_fma_f32 v16, -v5, v3, v4
	v_cmp_ge_f32_e64 s1, 0, v14
	s_delay_alu instid0(VALU_DEP_1) | instskip(NEXT) | instid1(VALU_DEP_3)
	v_cndmask_b32_e64 v3, v3, v7, s1
	v_cmp_lt_f32_e64 s1, 0, v16
	s_delay_alu instid0(TRANS32_DEP_1) | instid1(VALU_DEP_1)
	v_dual_add_nc_u32 v7, -1, v15 :: v_dual_cndmask_b32 v3, v3, v5, s1
	s_delay_alu instid0(VALU_DEP_1) | instskip(NEXT) | instid1(VALU_DEP_2)
	v_dual_add_nc_u32 v5, 1, v15 :: v_dual_fma_f32 v14, -v7, v15, v2
	v_mul_f32_e32 v16, 0x37800000, v3
	s_delay_alu instid0(VALU_DEP_2) | instskip(NEXT) | instid1(VALU_DEP_3)
	v_fma_f32 v17, -v5, v15, v2
	v_cmp_ge_f32_e64 s1, 0, v14
	s_delay_alu instid0(VALU_DEP_3) | instskip(SKIP_1) | instid1(VALU_DEP_2)
	v_cndmask_b32_e32 v3, v3, v16, vcc_lo
	v_cmp_class_f32_e64 vcc_lo, v4, 0x260
	v_cndmask_b32_e32 v3, v3, v4, vcc_lo
	s_delay_alu instid0(VALU_DEP_1) | instskip(SKIP_4) | instid1(VALU_DEP_3)
	v_cmp_nge_f32_e32 vcc_lo, 1.0, v3
	v_cndmask_b32_e64 v7, v15, v7, s1
	v_cmp_lt_f32_e64 s1, 0, v17
	v_cndmask_b32_e32 v3, v6, v13, vcc_lo
	v_cmp_class_f32_e64 vcc_lo, v2, 0x260
	v_cndmask_b32_e64 v5, v7, v5, s1
	s_delay_alu instid0(VALU_DEP_1) | instskip(NEXT) | instid1(VALU_DEP_1)
	v_mul_f32_e32 v4, 0x37800000, v5
	v_dual_cndmask_b32 v4, v5, v4, s0 :: v_dual_add_f32 v5, 1.0, v3
	s_delay_alu instid0(VALU_DEP_1) | instskip(NEXT) | instid1(VALU_DEP_1)
	v_cndmask_b32_e32 v2, v4, v2, vcc_lo
	v_cmp_nge_f32_e32 vcc_lo, 1.0, v2
	s_delay_alu instid0(VALU_DEP_3)
	v_cndmask_b32_e32 v13, v5, v3, vcc_lo
	s_cbranch_scc1 .LBB27_273
; %bb.274:
	v_dual_mov_b32 v1, 1 :: v_dual_add_nc_u32 v2, 0x753000, v0
	s_mov_b32 s1, 0
	s_mov_b32 s12, exec_lo
	s_delay_alu instid0(VALU_DEP_1)
	v_cmpx_ne_u32_e32 0, v2
	s_cbranch_execz .LBB27_296
; %bb.275:
	v_mov_b32_e32 v3, 0
	v_mov_b64_e32 v[6:7], 1
	s_mov_b64 s[8:9], 0xbc8f
	s_mov_b64 s[2:3], 0xfffffffd
	;; [unrolled: 1-line block ×3, first 2 shown]
	v_mov_b64_e32 v[4:5], v[2:3]
	s_mov_b64 s[6:7], 0x80000001
	s_mov_b32 s13, 0
	s_branch .LBB27_277
.LBB27_276:                             ;   in Loop: Header=BB27_277 Depth=1
	s_or_b32 exec_lo, exec_lo, s0
	s_mul_u64 s[8:9], s[8:9], s[8:9]
	s_mov_b32 s15, s1
	s_and_b64 s[16:17], s[8:9], s[2:3]
	s_mov_b32 s0, s9
	s_mul_u64 s[18:19], s[16:17], 3
	s_mul_u64 s[20:21], s[0:1], 3
	s_mov_b32 s14, s19
	s_mul_u64 s[16:17], s[16:17], s[6:7]
	s_add_nc_u64 s[14:15], s[20:21], s[14:15]
	v_lshrrev_b64 v[14:15], 1, v[4:5]
	s_and_b64 s[20:21], s[14:15], s[4:5]
	s_mov_b32 s19, s1
	s_add_nc_u64 s[16:17], s[16:17], s[20:21]
	s_mov_b32 s23, s1
	s_mov_b32 s18, s15
	;; [unrolled: 1-line block ×3, first 2 shown]
	s_mul_u64 s[16:17], s[0:1], s[6:7]
	s_add_nc_u64 s[14:15], s[18:19], s[22:23]
	v_cmp_gt_u64_e32 vcc_lo, 2, v[4:5]
	s_add_nc_u64 s[14:15], s[16:17], s[14:15]
	v_mov_b64_e32 v[4:5], v[14:15]
	s_lshr_b64 s[14:15], s[14:15], 30
	s_delay_alu instid0(SALU_CYCLE_1)
	s_mul_u64 s[14:15], s[14:15], 0x7fffffff
	s_or_b32 s13, vcc_lo, s13
	s_sub_nc_u64 s[8:9], s[8:9], s[14:15]
	s_and_not1_b32 exec_lo, exec_lo, s13
	s_cbranch_execz .LBB27_295
.LBB27_277:                             ; =>This Inner Loop Header: Depth=1
	s_delay_alu instid0(VALU_DEP_1) | instskip(SKIP_1) | instid1(VALU_DEP_1)
	v_and_b32_e32 v1, 1, v4
	s_mov_b32 s0, exec_lo
	v_cmpx_eq_u32_e32 1, v1
	s_cbranch_execz .LBB27_276
; %bb.278:                              ;   in Loop: Header=BB27_277 Depth=1
	v_mul_u64_e32 v[6:7], s[8:9], v[6:7]
	s_delay_alu instid0(VALU_DEP_1) | instskip(NEXT) | instid1(VALU_DEP_1)
	v_mov_b32_e32 v2, v6
	v_mul_u64_e32 v[14:15], 5, v[2:3]
	s_delay_alu instid0(VALU_DEP_1) | instskip(NEXT) | instid1(VALU_DEP_1)
	v_mov_b32_e32 v2, v15
	v_mad_nc_u64_u32 v[14:15], v7, 5, v[2:3]
	s_delay_alu instid0(VALU_DEP_1) | instskip(NEXT) | instid1(VALU_DEP_1)
	v_dual_mov_b32 v2, v15 :: v_dual_mov_b32 v15, v3
	v_mad_nc_u64_u32 v[14:15], v6, 2, v[14:15]
	s_delay_alu instid0(VALU_DEP_1) | instskip(NEXT) | instid1(VALU_DEP_1)
	v_dual_mov_b32 v14, v15 :: v_dual_mov_b32 v15, v3
	v_add_nc_u64_e32 v[14:15], v[2:3], v[14:15]
	s_delay_alu instid0(VALU_DEP_1) | instskip(NEXT) | instid1(VALU_DEP_1)
	v_mad_nc_u64_u32 v[14:15], v7, 2, v[14:15]
	v_sub_nc_u64_e32 v[16:17], v[6:7], v[14:15]
	s_delay_alu instid0(VALU_DEP_1) | instskip(NEXT) | instid1(VALU_DEP_1)
	v_lshrrev_b64 v[16:17], 1, v[16:17]
	v_add_nc_u64_e32 v[14:15], v[16:17], v[14:15]
	s_delay_alu instid0(VALU_DEP_1) | instskip(NEXT) | instid1(VALU_DEP_1)
	v_lshrrev_b64 v[14:15], 30, v[14:15]
	v_mul_u64_e32 v[14:15], 0x7fffffff, v[14:15]
	s_delay_alu instid0(VALU_DEP_1)
	v_sub_nc_u64_e32 v[6:7], v[6:7], v[14:15]
	s_branch .LBB27_276
.LBB27_279:
	s_or_b32 exec_lo, exec_lo, s15
	v_add_min_u32_e64 v3, 0x80000001, v8, v8
	s_delay_alu instid0(VALU_DEP_1)
	v_add_min_u32_e64 v3, 0x80000001, v3, v3
.LBB27_280:
	s_or_b32 exec_lo, exec_lo, s14
	v_mov_b32_e32 v8, 0
	s_movk_i32 s3, 0x1388
	s_brev_b32 s2, 12
.LBB27_281:                             ; =>This Inner Loop Header: Depth=1
	v_mul_hi_u32 v4, 0xbc8f1391, v3
	s_delay_alu instid0(VALU_DEP_1) | instskip(NEXT) | instid1(VALU_DEP_1)
	v_lshrrev_b32_e32 v4, 15, v4
	v_mul_u32_u24_e32 v5, 0xadc8, v4
	s_delay_alu instid0(VALU_DEP_1) | instskip(SKIP_1) | instid1(VALU_DEP_2)
	v_sub_nc_u32_e32 v3, v3, v5
	v_mul_u32_u24_e32 v4, 0xd47, v4
	v_mul_lo_u32 v3, 0xbc8f, v3
	s_delay_alu instid0(VALU_DEP_2) | instskip(SKIP_1) | instid1(VALU_DEP_3)
	v_xor_b32_e32 v5, 0x7fffffff, v4
	v_sub_nc_u32_e32 v6, 0, v4
	v_cmp_lt_u32_e32 vcc_lo, v3, v4
	s_delay_alu instid0(VALU_DEP_2) | instskip(NEXT) | instid1(VALU_DEP_1)
	v_cndmask_b32_e32 v4, v6, v5, vcc_lo
	v_add_nc_u32_e32 v3, v4, v3
	s_delay_alu instid0(VALU_DEP_1) | instskip(NEXT) | instid1(VALU_DEP_1)
	v_mul_hi_u32 v4, 0xbc8f1391, v3
	v_lshrrev_b32_e32 v4, 15, v4
	s_delay_alu instid0(VALU_DEP_1) | instskip(SKIP_1) | instid1(VALU_DEP_2)
	v_mul_u32_u24_e32 v5, 0xadc8, v4
	v_mul_u32_u24_e32 v4, 0xd47, v4
	v_sub_nc_u32_e32 v5, v3, v5
	s_delay_alu instid0(VALU_DEP_2) | instskip(SKIP_1) | instid1(VALU_DEP_3)
	v_xor_b32_e32 v6, 0x7fffffff, v4
	v_add_nc_u32_e32 v3, -1, v3
	v_mul_lo_u32 v5, 0xbc8f, v5
	v_sub_nc_u32_e32 v7, 0, v4
	s_delay_alu instid0(VALU_DEP_2) | instskip(NEXT) | instid1(VALU_DEP_2)
	v_cmp_lt_u32_e32 vcc_lo, v5, v4
	v_cndmask_b32_e32 v4, v7, v6, vcc_lo
	s_delay_alu instid0(VALU_DEP_1) | instskip(NEXT) | instid1(VALU_DEP_1)
	v_add_nc_u32_e32 v5, v4, v5
	v_mul_hi_u32 v4, 0xbc8f1391, v5
	s_delay_alu instid0(VALU_DEP_1) | instskip(NEXT) | instid1(VALU_DEP_1)
	v_lshrrev_b32_e32 v4, 15, v4
	v_mul_u32_u24_e32 v6, 0xadc8, v4
	v_mul_u32_u24_e32 v4, 0xd47, v4
	s_delay_alu instid0(VALU_DEP_2) | instskip(NEXT) | instid1(VALU_DEP_2)
	v_sub_nc_u32_e32 v6, v5, v6
	v_xor_b32_e32 v7, 0x7fffffff, v4
	s_delay_alu instid0(VALU_DEP_2) | instskip(SKIP_1) | instid1(VALU_DEP_2)
	v_mul_lo_u32 v6, 0xbc8f, v6
	v_sub_nc_u32_e32 v9, 0, v4
	v_cmp_lt_u32_e32 vcc_lo, v6, v4
	s_delay_alu instid0(VALU_DEP_2) | instskip(NEXT) | instid1(VALU_DEP_1)
	v_dual_cndmask_b32 v4, v9, v7 :: v_dual_add_f32 v9, 1.0, v8
	v_add_nc_u32_e32 v6, v4, v6
	s_delay_alu instid0(VALU_DEP_1) | instskip(NEXT) | instid1(VALU_DEP_1)
	v_mul_hi_u32 v4, 0xbc8f1391, v6
	v_lshrrev_b32_e32 v4, 15, v4
	s_delay_alu instid0(VALU_DEP_1) | instskip(SKIP_2) | instid1(VALU_DEP_3)
	v_mul_u32_u24_e32 v7, 0xadc8, v4
	v_mul_u32_u24_e32 v21, 0xd47, v4
	v_cvt_f32_u32_e32 v4, v3
	v_sub_nc_u32_e32 v7, v6, v7
	s_delay_alu instid0(VALU_DEP_3) | instskip(SKIP_1) | instid1(VALU_DEP_3)
	v_xor_b32_e32 v3, 0x7fffffff, v21
	v_dual_sub_nc_u32 v22, 0, v21 :: v_dual_add_nc_u32 v6, -1, v6
	v_mul_lo_u32 v7, 0xbc8f, v7
	s_delay_alu instid0(VALU_DEP_2) | instskip(NEXT) | instid1(VALU_DEP_2)
	v_cvt_f32_u32_e32 v6, v6
	v_cmp_lt_u32_e32 vcc_lo, v7, v21
	s_delay_alu instid0(VALU_DEP_4) | instskip(NEXT) | instid1(VALU_DEP_1)
	v_dual_add_nc_u32 v5, -1, v5 :: v_dual_cndmask_b32 v3, v22, v3, vcc_lo
	v_cvt_f32_u32_e32 v5, v5
	s_delay_alu instid0(VALU_DEP_2) | instskip(NEXT) | instid1(VALU_DEP_2)
	v_add_nc_u32_e32 v3, v3, v7
	v_pk_fma_f32 v[4:5], v[4:5], s[2:3], 0 op_sel_hi:[1,0,0]
	s_delay_alu instid0(VALU_DEP_1) | instskip(NEXT) | instid1(VALU_DEP_1)
	v_pk_mul_f32 v[4:5], v[4:5], v[4:5]
	v_dual_add_nc_u32 v7, -1, v3 :: v_dual_add_f32 v21, v4, v5
	s_delay_alu instid0(VALU_DEP_1) | instskip(NEXT) | instid1(VALU_DEP_2)
	v_cvt_f32_u32_e32 v7, v7
	v_cmp_gt_f32_e32 vcc_lo, 0xf800000, v21
	s_delay_alu instid0(VALU_DEP_2) | instskip(SKIP_1) | instid1(SALU_CYCLE_1)
	v_pk_fma_f32 v[4:5], v[6:7], s[2:3], 0 op_sel_hi:[1,0,0]
	s_add_co_i32 s3, s3, -2
	s_cmp_lg_u32 s3, 0
	s_delay_alu instid0(VALU_DEP_1) | instskip(NEXT) | instid1(VALU_DEP_1)
	v_pk_mul_f32 v[4:5], v[4:5], v[4:5]
	v_add_f32_e32 v4, v4, v5
	s_delay_alu instid0(VALU_DEP_1) | instskip(NEXT) | instid1(VALU_DEP_1)
	v_dual_mul_f32 v6, 0x4f800000, v21 :: v_dual_mul_f32 v7, 0x4f800000, v4
	v_cndmask_b32_e32 v6, v21, v6, vcc_lo
	v_cmp_gt_f32_e64 s0, 0xf800000, v4
	s_delay_alu instid0(VALU_DEP_2) | instskip(SKIP_1) | instid1(TRANS32_DEP_1)
	v_sqrt_f32_e32 v5, v6
	v_nop
	v_dual_add_nc_u32 v21, -1, v5 :: v_dual_cndmask_b32 v4, v4, v7, s0
	s_delay_alu instid0(VALU_DEP_1) | instskip(NEXT) | instid1(VALU_DEP_2)
	v_dual_add_nc_u32 v7, 1, v5 :: v_dual_fma_f32 v22, -v21, v5, v6
	v_sqrt_f32_e32 v23, v4
	s_delay_alu instid0(VALU_DEP_1) | instskip(NEXT) | instid1(VALU_DEP_2)
	v_fma_f32 v24, -v7, v5, v6
	v_cmp_ge_f32_e64 s1, 0, v22
	s_delay_alu instid0(TRANS32_DEP_1) | instid1(VALU_DEP_1)
	v_dual_cndmask_b32 v5, v5, v21, s1 :: v_dual_add_nc_u32 v21, -1, v23
	s_delay_alu instid0(VALU_DEP_3) | instskip(NEXT) | instid1(VALU_DEP_1)
	v_cmp_lt_f32_e64 s1, 0, v24
	v_cndmask_b32_e64 v5, v5, v7, s1
	s_delay_alu instid0(VALU_DEP_3) | instskip(NEXT) | instid1(VALU_DEP_1)
	v_dual_add_nc_u32 v7, 1, v23 :: v_dual_fma_f32 v22, -v21, v23, v4
	v_fma_f32 v25, -v7, v23, v4
	s_delay_alu instid0(VALU_DEP_2) | instskip(NEXT) | instid1(VALU_DEP_1)
	v_cmp_ge_f32_e64 s1, 0, v22
	v_cndmask_b32_e64 v21, v23, v21, s1
	v_mul_f32_e32 v24, 0x37800000, v5
	s_delay_alu instid0(VALU_DEP_4) | instskip(NEXT) | instid1(VALU_DEP_1)
	v_cmp_lt_f32_e64 s1, 0, v25
	v_cndmask_b32_e64 v7, v21, v7, s1
	s_delay_alu instid0(VALU_DEP_3) | instskip(SKIP_1) | instid1(VALU_DEP_2)
	v_cndmask_b32_e32 v5, v5, v24, vcc_lo
	v_cmp_class_f32_e64 vcc_lo, v6, 0x260
	v_dual_cndmask_b32 v5, v5, v6 :: v_dual_mul_f32 v6, 0x37800000, v7
	s_delay_alu instid0(VALU_DEP_1) | instskip(NEXT) | instid1(VALU_DEP_2)
	v_cmp_nge_f32_e32 vcc_lo, 1.0, v5
	v_dual_cndmask_b32 v6, v7, v6, s0 :: v_dual_cndmask_b32 v5, v9, v8, vcc_lo
	v_cmp_class_f32_e64 vcc_lo, v4, 0x260
	s_delay_alu instid0(VALU_DEP_2) | instskip(NEXT) | instid1(VALU_DEP_1)
	v_dual_add_f32 v7, 1.0, v5 :: v_dual_cndmask_b32 v4, v6, v4
	v_cmp_nge_f32_e32 vcc_lo, 1.0, v4
	s_delay_alu instid0(VALU_DEP_2)
	v_cndmask_b32_e32 v8, v7, v5, vcc_lo
	s_cbranch_scc1 .LBB27_281
; %bb.282:
	v_dual_mov_b32 v3, 1 :: v_dual_add_nc_u32 v2, 0x88b800, v2
	s_mov_b32 s1, 0
	s_mov_b32 s14, exec_lo
	s_delay_alu instid0(VALU_DEP_1)
	v_cmpx_ne_u32_e32 0, v2
	s_cbranch_execz .LBB27_304
; %bb.283:
	v_mov_b32_e32 v3, 0
	v_mov_b64_e32 v[6:7], 1
	s_mov_b64 s[8:9], 0xbc8f
	s_mov_b64 s[2:3], 0xfffffffd
	;; [unrolled: 1-line block ×3, first 2 shown]
	v_mov_b64_e32 v[4:5], v[2:3]
	s_mov_b64 s[6:7], 0x80000001
	s_mov_b32 s15, 0
	s_branch .LBB27_285
.LBB27_284:                             ;   in Loop: Header=BB27_285 Depth=1
	s_or_b32 exec_lo, exec_lo, s0
	s_mul_u64 s[8:9], s[8:9], s[8:9]
	s_mov_b32 s17, s1
	s_and_b64 s[18:19], s[8:9], s[2:3]
	s_mov_b32 s0, s9
	s_mul_u64 s[22:23], s[18:19], 3
	s_mul_u64 s[24:25], s[0:1], 3
	s_mov_b32 s16, s23
	s_mul_u64 s[18:19], s[18:19], s[6:7]
	s_add_nc_u64 s[16:17], s[24:25], s[16:17]
	v_lshrrev_b64 v[22:23], 1, v[4:5]
	s_and_b64 s[24:25], s[16:17], s[4:5]
	s_mov_b32 s23, s1
	s_add_nc_u64 s[18:19], s[18:19], s[24:25]
	s_mov_b32 s27, s1
	s_mov_b32 s22, s17
	;; [unrolled: 1-line block ×3, first 2 shown]
	s_mul_u64 s[18:19], s[0:1], s[6:7]
	s_add_nc_u64 s[16:17], s[22:23], s[26:27]
	v_cmp_gt_u64_e32 vcc_lo, 2, v[4:5]
	s_add_nc_u64 s[16:17], s[18:19], s[16:17]
	v_mov_b64_e32 v[4:5], v[22:23]
	s_lshr_b64 s[16:17], s[16:17], 30
	s_delay_alu instid0(SALU_CYCLE_1)
	s_mul_u64 s[16:17], s[16:17], 0x7fffffff
	s_or_b32 s15, vcc_lo, s15
	s_sub_nc_u64 s[8:9], s[8:9], s[16:17]
	s_and_not1_b32 exec_lo, exec_lo, s15
	s_cbranch_execz .LBB27_303
.LBB27_285:                             ; =>This Inner Loop Header: Depth=1
	s_delay_alu instid0(VALU_DEP_1) | instskip(SKIP_1) | instid1(VALU_DEP_1)
	v_and_b32_e32 v2, 1, v4
	s_mov_b32 s0, exec_lo
	v_cmpx_eq_u32_e32 1, v2
	s_cbranch_execz .LBB27_284
; %bb.286:                              ;   in Loop: Header=BB27_285 Depth=1
	v_mul_u64_e32 v[6:7], s[8:9], v[6:7]
	s_delay_alu instid0(VALU_DEP_1) | instskip(NEXT) | instid1(VALU_DEP_1)
	v_mov_b32_e32 v2, v6
	v_mul_u64_e32 v[22:23], 5, v[2:3]
	s_delay_alu instid0(VALU_DEP_1) | instskip(NEXT) | instid1(VALU_DEP_1)
	v_mov_b32_e32 v2, v23
	v_mad_nc_u64_u32 v[22:23], v7, 5, v[2:3]
	s_delay_alu instid0(VALU_DEP_1) | instskip(NEXT) | instid1(VALU_DEP_1)
	v_dual_mov_b32 v2, v23 :: v_dual_mov_b32 v23, v3
	v_mad_nc_u64_u32 v[22:23], v6, 2, v[22:23]
	s_delay_alu instid0(VALU_DEP_1) | instskip(NEXT) | instid1(VALU_DEP_1)
	v_dual_mov_b32 v22, v23 :: v_dual_mov_b32 v23, v3
	v_add_nc_u64_e32 v[22:23], v[2:3], v[22:23]
	s_delay_alu instid0(VALU_DEP_1) | instskip(NEXT) | instid1(VALU_DEP_1)
	v_mad_nc_u64_u32 v[22:23], v7, 2, v[22:23]
	v_sub_nc_u64_e32 v[24:25], v[6:7], v[22:23]
	s_delay_alu instid0(VALU_DEP_1) | instskip(NEXT) | instid1(VALU_DEP_1)
	v_lshrrev_b64 v[24:25], 1, v[24:25]
	v_add_nc_u64_e32 v[22:23], v[24:25], v[22:23]
	s_delay_alu instid0(VALU_DEP_1) | instskip(NEXT) | instid1(VALU_DEP_1)
	v_lshrrev_b64 v[22:23], 30, v[22:23]
	v_mul_u64_e32 v[22:23], 0x7fffffff, v[22:23]
	s_delay_alu instid0(VALU_DEP_1)
	v_sub_nc_u64_e32 v[6:7], v[6:7], v[22:23]
	s_branch .LBB27_284
.LBB27_287:
	s_or_b32 exec_lo, exec_lo, s13
	v_add_min_u32_e64 v3, 0x80000001, v8, v8
	s_delay_alu instid0(VALU_DEP_1)
	v_add_min_u32_e64 v3, 0x80000001, v3, v3
.LBB27_288:
	s_or_b32 exec_lo, exec_lo, s12
	v_mov_b32_e32 v16, 0
	s_movk_i32 s3, 0x1388
	s_brev_b32 s2, 12
.LBB27_289:                             ; =>This Inner Loop Header: Depth=1
	v_mul_hi_u32 v4, 0xbc8f1391, v3
	s_delay_alu instid0(VALU_DEP_1) | instskip(NEXT) | instid1(VALU_DEP_1)
	v_lshrrev_b32_e32 v4, 15, v4
	v_mul_u32_u24_e32 v5, 0xadc8, v4
	s_delay_alu instid0(VALU_DEP_1) | instskip(SKIP_1) | instid1(VALU_DEP_2)
	v_sub_nc_u32_e32 v3, v3, v5
	v_mul_u32_u24_e32 v4, 0xd47, v4
	v_mul_lo_u32 v3, 0xbc8f, v3
	s_delay_alu instid0(VALU_DEP_2) | instskip(SKIP_1) | instid1(VALU_DEP_3)
	v_xor_b32_e32 v5, 0x7fffffff, v4
	v_sub_nc_u32_e32 v6, 0, v4
	v_cmp_lt_u32_e32 vcc_lo, v3, v4
	s_delay_alu instid0(VALU_DEP_2) | instskip(NEXT) | instid1(VALU_DEP_1)
	v_cndmask_b32_e32 v4, v6, v5, vcc_lo
	v_add_nc_u32_e32 v3, v4, v3
	s_delay_alu instid0(VALU_DEP_1) | instskip(NEXT) | instid1(VALU_DEP_1)
	v_mul_hi_u32 v4, 0xbc8f1391, v3
	v_lshrrev_b32_e32 v4, 15, v4
	s_delay_alu instid0(VALU_DEP_1) | instskip(SKIP_1) | instid1(VALU_DEP_2)
	v_mul_u32_u24_e32 v5, 0xadc8, v4
	v_mul_u32_u24_e32 v4, 0xd47, v4
	v_sub_nc_u32_e32 v5, v3, v5
	s_delay_alu instid0(VALU_DEP_2) | instskip(SKIP_1) | instid1(VALU_DEP_3)
	v_xor_b32_e32 v6, 0x7fffffff, v4
	v_add_nc_u32_e32 v3, -1, v3
	v_mul_lo_u32 v5, 0xbc8f, v5
	v_sub_nc_u32_e32 v7, 0, v4
	s_delay_alu instid0(VALU_DEP_2) | instskip(NEXT) | instid1(VALU_DEP_2)
	v_cmp_lt_u32_e32 vcc_lo, v5, v4
	v_cndmask_b32_e32 v4, v7, v6, vcc_lo
	s_delay_alu instid0(VALU_DEP_1) | instskip(NEXT) | instid1(VALU_DEP_1)
	v_add_nc_u32_e32 v5, v4, v5
	v_mul_hi_u32 v4, 0xbc8f1391, v5
	s_delay_alu instid0(VALU_DEP_1) | instskip(NEXT) | instid1(VALU_DEP_1)
	v_lshrrev_b32_e32 v4, 15, v4
	v_mul_u32_u24_e32 v6, 0xadc8, v4
	v_mul_u32_u24_e32 v4, 0xd47, v4
	s_delay_alu instid0(VALU_DEP_2) | instskip(NEXT) | instid1(VALU_DEP_2)
	v_sub_nc_u32_e32 v6, v5, v6
	v_xor_b32_e32 v7, 0x7fffffff, v4
	s_delay_alu instid0(VALU_DEP_2) | instskip(SKIP_1) | instid1(VALU_DEP_2)
	v_mul_lo_u32 v6, 0xbc8f, v6
	v_sub_nc_u32_e32 v8, 0, v4
	v_cmp_lt_u32_e32 vcc_lo, v6, v4
	s_delay_alu instid0(VALU_DEP_2) | instskip(NEXT) | instid1(VALU_DEP_1)
	v_dual_cndmask_b32 v4, v8, v7, vcc_lo :: v_dual_add_f32 v8, 1.0, v16
	v_add_nc_u32_e32 v6, v4, v6
	s_delay_alu instid0(VALU_DEP_1) | instskip(NEXT) | instid1(VALU_DEP_1)
	v_mul_hi_u32 v4, 0xbc8f1391, v6
	v_lshrrev_b32_e32 v4, 15, v4
	s_delay_alu instid0(VALU_DEP_1) | instskip(SKIP_2) | instid1(VALU_DEP_3)
	v_mul_u32_u24_e32 v7, 0xadc8, v4
	v_mul_u32_u24_e32 v9, 0xd47, v4
	v_cvt_f32_u32_e32 v4, v3
	v_sub_nc_u32_e32 v7, v6, v7
	s_delay_alu instid0(VALU_DEP_3) | instskip(SKIP_1) | instid1(VALU_DEP_3)
	v_xor_b32_e32 v3, 0x7fffffff, v9
	v_dual_sub_nc_u32 v17, 0, v9 :: v_dual_add_nc_u32 v6, -1, v6
	v_mul_lo_u32 v7, 0xbc8f, v7
	s_delay_alu instid0(VALU_DEP_2) | instskip(NEXT) | instid1(VALU_DEP_2)
	v_cvt_f32_u32_e32 v6, v6
	v_cmp_lt_u32_e32 vcc_lo, v7, v9
	s_delay_alu instid0(VALU_DEP_4) | instskip(NEXT) | instid1(VALU_DEP_1)
	v_dual_add_nc_u32 v5, -1, v5 :: v_dual_cndmask_b32 v3, v17, v3, vcc_lo
	v_cvt_f32_u32_e32 v5, v5
	s_delay_alu instid0(VALU_DEP_2) | instskip(NEXT) | instid1(VALU_DEP_2)
	v_add_nc_u32_e32 v3, v3, v7
	v_pk_fma_f32 v[4:5], v[4:5], s[2:3], 0 op_sel_hi:[1,0,0]
	s_delay_alu instid0(VALU_DEP_1) | instskip(NEXT) | instid1(VALU_DEP_1)
	v_pk_mul_f32 v[4:5], v[4:5], v[4:5]
	v_dual_add_nc_u32 v7, -1, v3 :: v_dual_add_f32 v9, v4, v5
	s_delay_alu instid0(VALU_DEP_1) | instskip(NEXT) | instid1(VALU_DEP_2)
	v_cvt_f32_u32_e32 v7, v7
	v_cmp_gt_f32_e32 vcc_lo, 0xf800000, v9
	s_delay_alu instid0(VALU_DEP_2) | instskip(SKIP_1) | instid1(SALU_CYCLE_1)
	v_pk_fma_f32 v[4:5], v[6:7], s[2:3], 0 op_sel_hi:[1,0,0]
	s_add_co_i32 s3, s3, -2
	s_cmp_lg_u32 s3, 0
	s_delay_alu instid0(VALU_DEP_1) | instskip(NEXT) | instid1(VALU_DEP_1)
	v_pk_mul_f32 v[4:5], v[4:5], v[4:5]
	v_add_f32_e32 v4, v4, v5
	s_delay_alu instid0(VALU_DEP_1) | instskip(NEXT) | instid1(VALU_DEP_1)
	v_dual_mul_f32 v6, 0x4f800000, v9 :: v_dual_mul_f32 v7, 0x4f800000, v4
	v_cndmask_b32_e32 v6, v9, v6, vcc_lo
	v_cmp_gt_f32_e64 s0, 0xf800000, v4
	s_delay_alu instid0(VALU_DEP_2) | instskip(SKIP_1) | instid1(TRANS32_DEP_1)
	v_sqrt_f32_e32 v5, v6
	v_nop
	v_dual_add_nc_u32 v9, -1, v5 :: v_dual_cndmask_b32 v4, v4, v7, s0
	s_delay_alu instid0(VALU_DEP_1) | instskip(NEXT) | instid1(VALU_DEP_2)
	v_dual_add_nc_u32 v7, 1, v5 :: v_dual_fma_f32 v17, -v9, v5, v6
	v_sqrt_f32_e32 v22, v4
	s_delay_alu instid0(VALU_DEP_1) | instskip(NEXT) | instid1(VALU_DEP_2)
	v_fma_f32 v23, -v7, v5, v6
	v_cmp_ge_f32_e64 s1, 0, v17
	s_delay_alu instid0(TRANS32_DEP_1) | instid1(VALU_DEP_1)
	v_dual_cndmask_b32 v5, v5, v9, s1 :: v_dual_add_nc_u32 v9, -1, v22
	s_delay_alu instid0(VALU_DEP_3) | instskip(NEXT) | instid1(VALU_DEP_2)
	v_cmp_lt_f32_e64 s1, 0, v23
	v_fma_f32 v17, -v9, v22, v4
	s_delay_alu instid0(VALU_DEP_2) | instskip(NEXT) | instid1(VALU_DEP_2)
	v_dual_cndmask_b32 v5, v5, v7, s1 :: v_dual_add_nc_u32 v7, 1, v22
	v_cmp_ge_f32_e64 s1, 0, v17
	s_delay_alu instid0(VALU_DEP_1) | instskip(NEXT) | instid1(VALU_DEP_1)
	v_dual_fma_f32 v24, -v7, v22, v4 :: v_dual_cndmask_b32 v9, v22, v9, s1
	v_cmp_lt_f32_e64 s1, 0, v24
	s_delay_alu instid0(VALU_DEP_1) | instskip(SKIP_1) | instid1(VALU_DEP_1)
	v_cndmask_b32_e64 v7, v9, v7, s1
	v_mul_f32_e32 v23, 0x37800000, v5
	v_cndmask_b32_e32 v5, v5, v23, vcc_lo
	v_cmp_class_f32_e64 vcc_lo, v6, 0x260
	s_delay_alu instid0(VALU_DEP_2) | instskip(NEXT) | instid1(VALU_DEP_1)
	v_cndmask_b32_e32 v5, v5, v6, vcc_lo
	v_cmp_nge_f32_e32 vcc_lo, 1.0, v5
	v_dual_cndmask_b32 v5, v8, v16 :: v_dual_mul_f32 v6, 0x37800000, v7
	v_cmp_class_f32_e64 vcc_lo, v4, 0x260
	s_delay_alu instid0(VALU_DEP_2) | instskip(NEXT) | instid1(VALU_DEP_1)
	v_dual_cndmask_b32 v6, v7, v6, s0 :: v_dual_add_f32 v7, 1.0, v5
	v_cndmask_b32_e32 v4, v6, v4, vcc_lo
	s_delay_alu instid0(VALU_DEP_1) | instskip(NEXT) | instid1(VALU_DEP_3)
	v_cmp_nge_f32_e32 vcc_lo, 1.0, v4
	v_cndmask_b32_e32 v16, v7, v5, vcc_lo
	s_cbranch_scc1 .LBB27_289
; %bb.290:
	v_dual_mov_b32 v3, 1 :: v_dual_add_nc_u32 v4, 0x88b800, v2
	s_mov_b32 s1, 0
	s_mov_b32 s12, exec_lo
	s_delay_alu instid0(VALU_DEP_1)
	v_cmpx_ne_u32_e32 0, v4
	s_cbranch_execz .LBB27_318
; %bb.291:
	v_mov_b32_e32 v5, 0
	v_mov_b64_e32 v[8:9], 1
	s_mov_b64 s[8:9], 0xbc8f
	s_mov_b64 s[2:3], 0xfffffffd
	;; [unrolled: 1-line block ×3, first 2 shown]
	v_mov_b64_e32 v[6:7], v[4:5]
	s_mov_b64 s[6:7], 0x80000001
	s_mov_b32 s13, 0
	s_branch .LBB27_293
.LBB27_292:                             ;   in Loop: Header=BB27_293 Depth=1
	s_or_b32 exec_lo, exec_lo, s0
	s_mul_u64 s[8:9], s[8:9], s[8:9]
	s_mov_b32 s15, s1
	s_and_b64 s[16:17], s[8:9], s[2:3]
	s_mov_b32 s0, s9
	s_mul_u64 s[20:21], s[16:17], 3
	s_mul_u64 s[22:23], s[0:1], 3
	s_mov_b32 s14, s21
	s_mul_u64 s[16:17], s[16:17], s[6:7]
	s_add_nc_u64 s[14:15], s[22:23], s[14:15]
	v_lshrrev_b64 v[22:23], 1, v[6:7]
	s_and_b64 s[22:23], s[14:15], s[4:5]
	s_mov_b32 s21, s1
	s_add_nc_u64 s[16:17], s[16:17], s[22:23]
	s_mov_b32 s25, s1
	s_mov_b32 s20, s15
	;; [unrolled: 1-line block ×3, first 2 shown]
	s_mul_u64 s[16:17], s[0:1], s[6:7]
	s_add_nc_u64 s[14:15], s[20:21], s[24:25]
	v_cmp_gt_u64_e32 vcc_lo, 2, v[6:7]
	s_add_nc_u64 s[14:15], s[16:17], s[14:15]
	v_mov_b64_e32 v[6:7], v[22:23]
	s_lshr_b64 s[14:15], s[14:15], 30
	s_delay_alu instid0(SALU_CYCLE_1)
	s_mul_u64 s[14:15], s[14:15], 0x7fffffff
	s_or_b32 s13, vcc_lo, s13
	s_sub_nc_u64 s[8:9], s[8:9], s[14:15]
	s_and_not1_b32 exec_lo, exec_lo, s13
	s_cbranch_execz .LBB27_317
.LBB27_293:                             ; =>This Inner Loop Header: Depth=1
	s_delay_alu instid0(VALU_DEP_1) | instskip(SKIP_1) | instid1(VALU_DEP_1)
	v_and_b32_e32 v3, 1, v6
	s_mov_b32 s0, exec_lo
	v_cmpx_eq_u32_e32 1, v3
	s_cbranch_execz .LBB27_292
; %bb.294:                              ;   in Loop: Header=BB27_293 Depth=1
	v_mul_u64_e32 v[8:9], s[8:9], v[8:9]
	s_delay_alu instid0(VALU_DEP_1) | instskip(NEXT) | instid1(VALU_DEP_1)
	v_mov_b32_e32 v4, v8
	v_mul_u64_e32 v[22:23], 5, v[4:5]
	s_delay_alu instid0(VALU_DEP_1) | instskip(NEXT) | instid1(VALU_DEP_1)
	v_mov_b32_e32 v4, v23
	v_mad_nc_u64_u32 v[22:23], v9, 5, v[4:5]
	s_delay_alu instid0(VALU_DEP_1) | instskip(NEXT) | instid1(VALU_DEP_1)
	v_dual_mov_b32 v4, v23 :: v_dual_mov_b32 v23, v5
	v_mad_nc_u64_u32 v[22:23], v8, 2, v[22:23]
	s_delay_alu instid0(VALU_DEP_1) | instskip(NEXT) | instid1(VALU_DEP_1)
	v_dual_mov_b32 v22, v23 :: v_dual_mov_b32 v23, v5
	v_add_nc_u64_e32 v[22:23], v[4:5], v[22:23]
	s_delay_alu instid0(VALU_DEP_1) | instskip(NEXT) | instid1(VALU_DEP_1)
	v_mad_nc_u64_u32 v[22:23], v9, 2, v[22:23]
	v_sub_nc_u64_e32 v[24:25], v[8:9], v[22:23]
	s_delay_alu instid0(VALU_DEP_1) | instskip(NEXT) | instid1(VALU_DEP_1)
	v_lshrrev_b64 v[24:25], 1, v[24:25]
	v_add_nc_u64_e32 v[22:23], v[24:25], v[22:23]
	s_delay_alu instid0(VALU_DEP_1) | instskip(NEXT) | instid1(VALU_DEP_1)
	v_lshrrev_b64 v[22:23], 30, v[22:23]
	v_mul_u64_e32 v[22:23], 0x7fffffff, v[22:23]
	s_delay_alu instid0(VALU_DEP_1)
	v_sub_nc_u64_e32 v[8:9], v[8:9], v[22:23]
	s_branch .LBB27_292
.LBB27_295:
	s_or_b32 exec_lo, exec_lo, s13
	v_add_min_u32_e64 v1, 0x80000001, v6, v6
	s_delay_alu instid0(VALU_DEP_1)
	v_add_min_u32_e64 v1, 0x80000001, v1, v1
.LBB27_296:
	s_or_b32 exec_lo, exec_lo, s12
	v_mov_b32_e32 v14, 0
	s_movk_i32 s3, 0x1388
	s_brev_b32 s2, 12
.LBB27_297:                             ; =>This Inner Loop Header: Depth=1
	v_mul_hi_u32 v2, 0xbc8f1391, v1
	s_delay_alu instid0(VALU_DEP_1) | instskip(NEXT) | instid1(VALU_DEP_1)
	v_lshrrev_b32_e32 v2, 15, v2
	v_mul_u32_u24_e32 v3, 0xadc8, v2
	s_delay_alu instid0(VALU_DEP_1) | instskip(SKIP_1) | instid1(VALU_DEP_2)
	v_sub_nc_u32_e32 v1, v1, v3
	v_mul_u32_u24_e32 v2, 0xd47, v2
	v_mul_lo_u32 v1, 0xbc8f, v1
	s_delay_alu instid0(VALU_DEP_2) | instskip(SKIP_1) | instid1(VALU_DEP_3)
	v_xor_b32_e32 v3, 0x7fffffff, v2
	v_sub_nc_u32_e32 v4, 0, v2
	v_cmp_lt_u32_e32 vcc_lo, v1, v2
	s_delay_alu instid0(VALU_DEP_2) | instskip(NEXT) | instid1(VALU_DEP_1)
	v_cndmask_b32_e32 v2, v4, v3, vcc_lo
	v_add_nc_u32_e32 v1, v2, v1
	s_delay_alu instid0(VALU_DEP_1) | instskip(NEXT) | instid1(VALU_DEP_1)
	v_mul_hi_u32 v2, 0xbc8f1391, v1
	v_lshrrev_b32_e32 v2, 15, v2
	s_delay_alu instid0(VALU_DEP_1) | instskip(SKIP_1) | instid1(VALU_DEP_2)
	v_mul_u32_u24_e32 v3, 0xadc8, v2
	v_mul_u32_u24_e32 v2, 0xd47, v2
	v_sub_nc_u32_e32 v3, v1, v3
	s_delay_alu instid0(VALU_DEP_2) | instskip(SKIP_1) | instid1(VALU_DEP_3)
	v_xor_b32_e32 v4, 0x7fffffff, v2
	v_add_nc_u32_e32 v1, -1, v1
	v_mul_lo_u32 v3, 0xbc8f, v3
	v_sub_nc_u32_e32 v5, 0, v2
	s_delay_alu instid0(VALU_DEP_2) | instskip(NEXT) | instid1(VALU_DEP_2)
	v_cmp_lt_u32_e32 vcc_lo, v3, v2
	v_cndmask_b32_e32 v2, v5, v4, vcc_lo
	s_delay_alu instid0(VALU_DEP_1) | instskip(NEXT) | instid1(VALU_DEP_1)
	v_add_nc_u32_e32 v3, v2, v3
	v_mul_hi_u32 v2, 0xbc8f1391, v3
	s_delay_alu instid0(VALU_DEP_1) | instskip(NEXT) | instid1(VALU_DEP_1)
	v_lshrrev_b32_e32 v2, 15, v2
	v_mul_u32_u24_e32 v4, 0xadc8, v2
	v_mul_u32_u24_e32 v2, 0xd47, v2
	s_delay_alu instid0(VALU_DEP_2) | instskip(NEXT) | instid1(VALU_DEP_2)
	v_sub_nc_u32_e32 v4, v3, v4
	v_xor_b32_e32 v5, 0x7fffffff, v2
	s_delay_alu instid0(VALU_DEP_2) | instskip(SKIP_1) | instid1(VALU_DEP_2)
	v_mul_lo_u32 v4, 0xbc8f, v4
	v_sub_nc_u32_e32 v6, 0, v2
	v_cmp_lt_u32_e32 vcc_lo, v4, v2
	s_delay_alu instid0(VALU_DEP_2) | instskip(NEXT) | instid1(VALU_DEP_1)
	v_dual_cndmask_b32 v2, v6, v5, vcc_lo :: v_dual_add_f32 v6, 1.0, v14
	v_add_nc_u32_e32 v4, v2, v4
	s_delay_alu instid0(VALU_DEP_1) | instskip(NEXT) | instid1(VALU_DEP_1)
	v_mul_hi_u32 v2, 0xbc8f1391, v4
	v_lshrrev_b32_e32 v2, 15, v2
	s_delay_alu instid0(VALU_DEP_1) | instskip(SKIP_2) | instid1(VALU_DEP_3)
	v_mul_u32_u24_e32 v5, 0xadc8, v2
	v_mul_u32_u24_e32 v7, 0xd47, v2
	v_cvt_f32_u32_e32 v2, v1
	v_sub_nc_u32_e32 v5, v4, v5
	s_delay_alu instid0(VALU_DEP_3) | instskip(SKIP_1) | instid1(VALU_DEP_3)
	v_xor_b32_e32 v1, 0x7fffffff, v7
	v_dual_sub_nc_u32 v15, 0, v7 :: v_dual_add_nc_u32 v4, -1, v4
	v_mul_lo_u32 v5, 0xbc8f, v5
	s_delay_alu instid0(VALU_DEP_2) | instskip(NEXT) | instid1(VALU_DEP_2)
	v_cvt_f32_u32_e32 v4, v4
	v_cmp_lt_u32_e32 vcc_lo, v5, v7
	s_delay_alu instid0(VALU_DEP_4) | instskip(NEXT) | instid1(VALU_DEP_1)
	v_dual_add_nc_u32 v3, -1, v3 :: v_dual_cndmask_b32 v1, v15, v1, vcc_lo
	v_cvt_f32_u32_e32 v3, v3
	s_delay_alu instid0(VALU_DEP_2) | instskip(NEXT) | instid1(VALU_DEP_2)
	v_add_nc_u32_e32 v1, v1, v5
	v_pk_fma_f32 v[2:3], v[2:3], s[2:3], 0 op_sel_hi:[1,0,0]
	s_delay_alu instid0(VALU_DEP_1) | instskip(NEXT) | instid1(VALU_DEP_1)
	v_pk_mul_f32 v[2:3], v[2:3], v[2:3]
	v_dual_add_nc_u32 v5, -1, v1 :: v_dual_add_f32 v7, v2, v3
	s_delay_alu instid0(VALU_DEP_1) | instskip(NEXT) | instid1(VALU_DEP_2)
	v_cvt_f32_u32_e32 v5, v5
	v_cmp_gt_f32_e32 vcc_lo, 0xf800000, v7
	s_delay_alu instid0(VALU_DEP_2) | instskip(SKIP_1) | instid1(SALU_CYCLE_1)
	v_pk_fma_f32 v[2:3], v[4:5], s[2:3], 0 op_sel_hi:[1,0,0]
	s_add_co_i32 s3, s3, -2
	s_cmp_lg_u32 s3, 0
	s_delay_alu instid0(VALU_DEP_1) | instskip(NEXT) | instid1(VALU_DEP_1)
	v_pk_mul_f32 v[2:3], v[2:3], v[2:3]
	v_add_f32_e32 v2, v2, v3
	s_delay_alu instid0(VALU_DEP_1) | instskip(NEXT) | instid1(VALU_DEP_1)
	v_dual_mul_f32 v4, 0x4f800000, v7 :: v_dual_mul_f32 v5, 0x4f800000, v2
	v_cndmask_b32_e32 v4, v7, v4, vcc_lo
	v_cmp_gt_f32_e64 s0, 0xf800000, v2
	s_delay_alu instid0(VALU_DEP_2) | instskip(SKIP_1) | instid1(TRANS32_DEP_1)
	v_sqrt_f32_e32 v3, v4
	v_nop
	v_dual_add_nc_u32 v7, -1, v3 :: v_dual_cndmask_b32 v2, v2, v5, s0
	s_delay_alu instid0(VALU_DEP_1) | instskip(NEXT) | instid1(VALU_DEP_2)
	v_dual_add_nc_u32 v5, 1, v3 :: v_dual_fma_f32 v15, -v7, v3, v4
	v_sqrt_f32_e32 v16, v2
	s_delay_alu instid0(VALU_DEP_1) | instskip(NEXT) | instid1(VALU_DEP_2)
	v_fma_f32 v17, -v5, v3, v4
	v_cmp_ge_f32_e64 s1, 0, v15
	s_delay_alu instid0(TRANS32_DEP_1) | instid1(VALU_DEP_1)
	v_dual_cndmask_b32 v3, v3, v7, s1 :: v_dual_add_nc_u32 v7, -1, v16
	s_delay_alu instid0(VALU_DEP_3) | instskip(NEXT) | instid1(VALU_DEP_2)
	v_cmp_lt_f32_e64 s1, 0, v17
	v_fma_f32 v15, -v7, v16, v2
	s_delay_alu instid0(VALU_DEP_2) | instskip(NEXT) | instid1(VALU_DEP_2)
	v_dual_cndmask_b32 v3, v3, v5, s1 :: v_dual_add_nc_u32 v5, 1, v16
	v_cmp_ge_f32_e64 s1, 0, v15
	s_delay_alu instid0(VALU_DEP_1) | instskip(NEXT) | instid1(VALU_DEP_1)
	v_dual_fma_f32 v18, -v5, v16, v2 :: v_dual_cndmask_b32 v7, v16, v7, s1
	v_cmp_lt_f32_e64 s1, 0, v18
	s_delay_alu instid0(VALU_DEP_1) | instskip(SKIP_1) | instid1(VALU_DEP_1)
	v_cndmask_b32_e64 v5, v7, v5, s1
	v_mul_f32_e32 v17, 0x37800000, v3
	v_cndmask_b32_e32 v3, v3, v17, vcc_lo
	v_cmp_class_f32_e64 vcc_lo, v4, 0x260
	s_delay_alu instid0(VALU_DEP_2) | instskip(NEXT) | instid1(VALU_DEP_1)
	v_cndmask_b32_e32 v3, v3, v4, vcc_lo
	v_cmp_nge_f32_e32 vcc_lo, 1.0, v3
	v_dual_cndmask_b32 v3, v6, v14 :: v_dual_mul_f32 v4, 0x37800000, v5
	v_cmp_class_f32_e64 vcc_lo, v2, 0x260
	s_delay_alu instid0(VALU_DEP_2) | instskip(NEXT) | instid1(VALU_DEP_1)
	v_dual_cndmask_b32 v4, v5, v4, s0 :: v_dual_add_f32 v5, 1.0, v3
	v_cndmask_b32_e32 v2, v4, v2, vcc_lo
	s_delay_alu instid0(VALU_DEP_1) | instskip(NEXT) | instid1(VALU_DEP_3)
	v_cmp_nge_f32_e32 vcc_lo, 1.0, v2
	v_cndmask_b32_e32 v14, v5, v3, vcc_lo
	s_cbranch_scc1 .LBB27_297
; %bb.298:
	v_dual_mov_b32 v1, 1 :: v_dual_add_nc_u32 v2, 0x88b800, v0
	s_mov_b32 s1, 0
	s_mov_b32 s12, exec_lo
	s_delay_alu instid0(VALU_DEP_1)
	v_cmpx_ne_u32_e32 0, v2
	s_cbranch_execz .LBB27_326
; %bb.299:
	v_mov_b32_e32 v3, 0
	v_mov_b64_e32 v[6:7], 1
	s_mov_b64 s[8:9], 0xbc8f
	s_mov_b64 s[2:3], 0xfffffffd
	;; [unrolled: 1-line block ×3, first 2 shown]
	v_mov_b64_e32 v[4:5], v[2:3]
	s_mov_b64 s[6:7], 0x80000001
	s_mov_b32 s13, 0
	s_branch .LBB27_301
.LBB27_300:                             ;   in Loop: Header=BB27_301 Depth=1
	s_or_b32 exec_lo, exec_lo, s0
	s_mul_u64 s[8:9], s[8:9], s[8:9]
	s_mov_b32 s15, s1
	s_and_b64 s[16:17], s[8:9], s[2:3]
	s_mov_b32 s0, s9
	s_mul_u64 s[18:19], s[16:17], 3
	s_mul_u64 s[20:21], s[0:1], 3
	s_mov_b32 s14, s19
	s_mul_u64 s[16:17], s[16:17], s[6:7]
	s_add_nc_u64 s[14:15], s[20:21], s[14:15]
	v_lshrrev_b64 v[16:17], 1, v[4:5]
	s_and_b64 s[20:21], s[14:15], s[4:5]
	s_mov_b32 s19, s1
	s_add_nc_u64 s[16:17], s[16:17], s[20:21]
	s_mov_b32 s23, s1
	s_mov_b32 s18, s15
	;; [unrolled: 1-line block ×3, first 2 shown]
	s_mul_u64 s[16:17], s[0:1], s[6:7]
	s_add_nc_u64 s[14:15], s[18:19], s[22:23]
	v_cmp_gt_u64_e32 vcc_lo, 2, v[4:5]
	s_add_nc_u64 s[14:15], s[16:17], s[14:15]
	v_mov_b64_e32 v[4:5], v[16:17]
	s_lshr_b64 s[14:15], s[14:15], 30
	s_delay_alu instid0(SALU_CYCLE_1)
	s_mul_u64 s[14:15], s[14:15], 0x7fffffff
	s_or_b32 s13, vcc_lo, s13
	s_sub_nc_u64 s[8:9], s[8:9], s[14:15]
	s_and_not1_b32 exec_lo, exec_lo, s13
	s_cbranch_execz .LBB27_325
.LBB27_301:                             ; =>This Inner Loop Header: Depth=1
	s_delay_alu instid0(VALU_DEP_1) | instskip(SKIP_1) | instid1(VALU_DEP_1)
	v_and_b32_e32 v1, 1, v4
	s_mov_b32 s0, exec_lo
	v_cmpx_eq_u32_e32 1, v1
	s_cbranch_execz .LBB27_300
; %bb.302:                              ;   in Loop: Header=BB27_301 Depth=1
	v_mul_u64_e32 v[6:7], s[8:9], v[6:7]
	s_delay_alu instid0(VALU_DEP_1) | instskip(NEXT) | instid1(VALU_DEP_1)
	v_mov_b32_e32 v2, v6
	v_mul_u64_e32 v[16:17], 5, v[2:3]
	s_delay_alu instid0(VALU_DEP_1) | instskip(NEXT) | instid1(VALU_DEP_1)
	v_mov_b32_e32 v2, v17
	v_mad_nc_u64_u32 v[16:17], v7, 5, v[2:3]
	s_delay_alu instid0(VALU_DEP_1) | instskip(NEXT) | instid1(VALU_DEP_1)
	v_dual_mov_b32 v2, v17 :: v_dual_mov_b32 v17, v3
	v_mad_nc_u64_u32 v[16:17], v6, 2, v[16:17]
	s_delay_alu instid0(VALU_DEP_1) | instskip(NEXT) | instid1(VALU_DEP_1)
	v_dual_mov_b32 v16, v17 :: v_dual_mov_b32 v17, v3
	v_add_nc_u64_e32 v[16:17], v[2:3], v[16:17]
	s_delay_alu instid0(VALU_DEP_1) | instskip(NEXT) | instid1(VALU_DEP_1)
	v_mad_nc_u64_u32 v[16:17], v7, 2, v[16:17]
	v_sub_nc_u64_e32 v[18:19], v[6:7], v[16:17]
	s_delay_alu instid0(VALU_DEP_1) | instskip(NEXT) | instid1(VALU_DEP_1)
	v_lshrrev_b64 v[18:19], 1, v[18:19]
	v_add_nc_u64_e32 v[16:17], v[18:19], v[16:17]
	s_delay_alu instid0(VALU_DEP_1) | instskip(NEXT) | instid1(VALU_DEP_1)
	v_lshrrev_b64 v[16:17], 30, v[16:17]
	v_mul_u64_e32 v[16:17], 0x7fffffff, v[16:17]
	s_delay_alu instid0(VALU_DEP_1)
	v_sub_nc_u64_e32 v[6:7], v[6:7], v[16:17]
	s_branch .LBB27_300
.LBB27_303:
	s_or_b32 exec_lo, exec_lo, s15
	v_add_min_u32_e64 v2, 0x80000001, v6, v6
	s_delay_alu instid0(VALU_DEP_1)
	v_add_min_u32_e64 v3, 0x80000001, v2, v2
.LBB27_304:
	s_or_b32 exec_lo, exec_lo, s14
	v_mov_b32_e32 v2, 0
	s_movk_i32 s3, 0x1388
	s_brev_b32 s2, 12
.LBB27_305:                             ; =>This Inner Loop Header: Depth=1
	v_mul_hi_u32 v4, 0xbc8f1391, v3
	s_delay_alu instid0(VALU_DEP_1) | instskip(NEXT) | instid1(VALU_DEP_1)
	v_lshrrev_b32_e32 v4, 15, v4
	v_mul_u32_u24_e32 v5, 0xadc8, v4
	s_delay_alu instid0(VALU_DEP_1) | instskip(SKIP_1) | instid1(VALU_DEP_2)
	v_sub_nc_u32_e32 v3, v3, v5
	v_mul_u32_u24_e32 v4, 0xd47, v4
	v_mul_lo_u32 v3, 0xbc8f, v3
	s_delay_alu instid0(VALU_DEP_2) | instskip(SKIP_1) | instid1(VALU_DEP_3)
	v_xor_b32_e32 v5, 0x7fffffff, v4
	v_sub_nc_u32_e32 v6, 0, v4
	v_cmp_lt_u32_e32 vcc_lo, v3, v4
	s_delay_alu instid0(VALU_DEP_2) | instskip(NEXT) | instid1(VALU_DEP_1)
	v_cndmask_b32_e32 v4, v6, v5, vcc_lo
	v_add_nc_u32_e32 v3, v4, v3
	s_delay_alu instid0(VALU_DEP_1) | instskip(NEXT) | instid1(VALU_DEP_1)
	v_mul_hi_u32 v4, 0xbc8f1391, v3
	v_lshrrev_b32_e32 v4, 15, v4
	s_delay_alu instid0(VALU_DEP_1) | instskip(SKIP_1) | instid1(VALU_DEP_2)
	v_mul_u32_u24_e32 v5, 0xadc8, v4
	v_mul_u32_u24_e32 v4, 0xd47, v4
	v_sub_nc_u32_e32 v5, v3, v5
	s_delay_alu instid0(VALU_DEP_2) | instskip(SKIP_1) | instid1(VALU_DEP_3)
	v_xor_b32_e32 v6, 0x7fffffff, v4
	v_add_nc_u32_e32 v3, -1, v3
	v_mul_lo_u32 v5, 0xbc8f, v5
	v_sub_nc_u32_e32 v7, 0, v4
	s_delay_alu instid0(VALU_DEP_2) | instskip(NEXT) | instid1(VALU_DEP_2)
	v_cmp_lt_u32_e32 vcc_lo, v5, v4
	v_cndmask_b32_e32 v4, v7, v6, vcc_lo
	s_delay_alu instid0(VALU_DEP_1) | instskip(NEXT) | instid1(VALU_DEP_1)
	v_add_nc_u32_e32 v5, v4, v5
	v_mul_hi_u32 v4, 0xbc8f1391, v5
	s_delay_alu instid0(VALU_DEP_1) | instskip(NEXT) | instid1(VALU_DEP_1)
	v_lshrrev_b32_e32 v4, 15, v4
	v_mul_u32_u24_e32 v6, 0xadc8, v4
	v_mul_u32_u24_e32 v4, 0xd47, v4
	s_delay_alu instid0(VALU_DEP_2) | instskip(NEXT) | instid1(VALU_DEP_2)
	v_sub_nc_u32_e32 v6, v5, v6
	v_xor_b32_e32 v7, 0x7fffffff, v4
	s_delay_alu instid0(VALU_DEP_2) | instskip(SKIP_1) | instid1(VALU_DEP_2)
	v_mul_lo_u32 v6, 0xbc8f, v6
	v_sub_nc_u32_e32 v9, 0, v4
	v_cmp_lt_u32_e32 vcc_lo, v6, v4
	s_delay_alu instid0(VALU_DEP_2) | instskip(NEXT) | instid1(VALU_DEP_1)
	v_dual_cndmask_b32 v4, v9, v7 :: v_dual_add_f32 v9, 1.0, v2
	v_add_nc_u32_e32 v6, v4, v6
	s_delay_alu instid0(VALU_DEP_1) | instskip(NEXT) | instid1(VALU_DEP_1)
	v_mul_hi_u32 v4, 0xbc8f1391, v6
	v_lshrrev_b32_e32 v4, 15, v4
	s_delay_alu instid0(VALU_DEP_1) | instskip(SKIP_2) | instid1(VALU_DEP_3)
	v_mul_u32_u24_e32 v7, 0xadc8, v4
	v_mul_u32_u24_e32 v21, 0xd47, v4
	v_cvt_f32_u32_e32 v4, v3
	v_sub_nc_u32_e32 v7, v6, v7
	s_delay_alu instid0(VALU_DEP_3) | instskip(SKIP_1) | instid1(VALU_DEP_3)
	v_xor_b32_e32 v3, 0x7fffffff, v21
	v_dual_sub_nc_u32 v22, 0, v21 :: v_dual_add_nc_u32 v6, -1, v6
	v_mul_lo_u32 v7, 0xbc8f, v7
	s_delay_alu instid0(VALU_DEP_2) | instskip(NEXT) | instid1(VALU_DEP_2)
	v_cvt_f32_u32_e32 v6, v6
	v_cmp_lt_u32_e32 vcc_lo, v7, v21
	s_delay_alu instid0(VALU_DEP_4) | instskip(NEXT) | instid1(VALU_DEP_1)
	v_dual_add_nc_u32 v5, -1, v5 :: v_dual_cndmask_b32 v3, v22, v3, vcc_lo
	v_cvt_f32_u32_e32 v5, v5
	s_delay_alu instid0(VALU_DEP_2) | instskip(NEXT) | instid1(VALU_DEP_2)
	v_add_nc_u32_e32 v3, v3, v7
	v_pk_fma_f32 v[4:5], v[4:5], s[2:3], 0 op_sel_hi:[1,0,0]
	s_delay_alu instid0(VALU_DEP_1) | instskip(NEXT) | instid1(VALU_DEP_1)
	v_pk_mul_f32 v[4:5], v[4:5], v[4:5]
	v_dual_add_nc_u32 v7, -1, v3 :: v_dual_add_f32 v21, v4, v5
	s_delay_alu instid0(VALU_DEP_1) | instskip(NEXT) | instid1(VALU_DEP_2)
	v_cvt_f32_u32_e32 v7, v7
	v_cmp_gt_f32_e32 vcc_lo, 0xf800000, v21
	s_delay_alu instid0(VALU_DEP_2) | instskip(SKIP_1) | instid1(SALU_CYCLE_1)
	v_pk_fma_f32 v[4:5], v[6:7], s[2:3], 0 op_sel_hi:[1,0,0]
	s_add_co_i32 s3, s3, -2
	s_cmp_lg_u32 s3, 0
	s_delay_alu instid0(VALU_DEP_1) | instskip(NEXT) | instid1(VALU_DEP_1)
	v_pk_mul_f32 v[4:5], v[4:5], v[4:5]
	v_add_f32_e32 v4, v4, v5
	s_delay_alu instid0(VALU_DEP_1) | instskip(NEXT) | instid1(VALU_DEP_1)
	v_dual_mul_f32 v6, 0x4f800000, v21 :: v_dual_mul_f32 v7, 0x4f800000, v4
	v_cndmask_b32_e32 v6, v21, v6, vcc_lo
	v_cmp_gt_f32_e64 s0, 0xf800000, v4
	s_delay_alu instid0(VALU_DEP_2) | instskip(SKIP_1) | instid1(TRANS32_DEP_1)
	v_sqrt_f32_e32 v5, v6
	v_nop
	v_dual_add_nc_u32 v21, -1, v5 :: v_dual_cndmask_b32 v4, v4, v7, s0
	s_delay_alu instid0(VALU_DEP_1) | instskip(NEXT) | instid1(VALU_DEP_2)
	v_dual_add_nc_u32 v7, 1, v5 :: v_dual_fma_f32 v22, -v21, v5, v6
	v_sqrt_f32_e32 v23, v4
	s_delay_alu instid0(VALU_DEP_1) | instskip(NEXT) | instid1(VALU_DEP_2)
	v_fma_f32 v24, -v7, v5, v6
	v_cmp_ge_f32_e64 s1, 0, v22
	s_delay_alu instid0(TRANS32_DEP_1) | instid1(VALU_DEP_1)
	v_dual_cndmask_b32 v5, v5, v21, s1 :: v_dual_add_nc_u32 v21, -1, v23
	s_delay_alu instid0(VALU_DEP_3) | instskip(NEXT) | instid1(VALU_DEP_1)
	v_cmp_lt_f32_e64 s1, 0, v24
	v_cndmask_b32_e64 v5, v5, v7, s1
	s_delay_alu instid0(VALU_DEP_3) | instskip(NEXT) | instid1(VALU_DEP_1)
	v_dual_add_nc_u32 v7, 1, v23 :: v_dual_fma_f32 v22, -v21, v23, v4
	v_fma_f32 v25, -v7, v23, v4
	s_delay_alu instid0(VALU_DEP_2) | instskip(NEXT) | instid1(VALU_DEP_1)
	v_cmp_ge_f32_e64 s1, 0, v22
	v_cndmask_b32_e64 v21, v23, v21, s1
	v_mul_f32_e32 v24, 0x37800000, v5
	s_delay_alu instid0(VALU_DEP_4) | instskip(NEXT) | instid1(VALU_DEP_1)
	v_cmp_lt_f32_e64 s1, 0, v25
	v_cndmask_b32_e64 v7, v21, v7, s1
	s_delay_alu instid0(VALU_DEP_3) | instskip(SKIP_1) | instid1(VALU_DEP_2)
	v_cndmask_b32_e32 v5, v5, v24, vcc_lo
	v_cmp_class_f32_e64 vcc_lo, v6, 0x260
	v_dual_cndmask_b32 v5, v5, v6 :: v_dual_mul_f32 v6, 0x37800000, v7
	s_delay_alu instid0(VALU_DEP_1) | instskip(NEXT) | instid1(VALU_DEP_2)
	v_cmp_nge_f32_e32 vcc_lo, 1.0, v5
	v_cndmask_b32_e64 v5, v7, v6, s0
	v_cndmask_b32_e32 v2, v9, v2, vcc_lo
	v_cmp_class_f32_e64 vcc_lo, v4, 0x260
	s_delay_alu instid0(VALU_DEP_1) | instskip(NEXT) | instid1(VALU_DEP_1)
	v_dual_add_f32 v6, 1.0, v2 :: v_dual_cndmask_b32 v4, v5, v4, vcc_lo
	v_cmp_nge_f32_e32 vcc_lo, 1.0, v4
	s_delay_alu instid0(VALU_DEP_2)
	v_cndmask_b32_e32 v2, v6, v2, vcc_lo
	s_cbranch_scc1 .LBB27_305
; %bb.306:
	v_dual_mul_f32 v3, 4.0, v8 :: v_dual_mul_f32 v4, 4.0, v19
	v_dual_mul_f32 v7, 4.0, v18 :: v_dual_mul_f32 v8, 4.0, v17
	v_mul_f32_e32 v15, 4.0, v15
	s_delay_alu instid0(VALU_DEP_3) | instskip(NEXT) | instid1(VALU_DEP_4)
	v_div_scale_f32 v5, null, 0x459c4000, 0x459c4000, v3
	v_div_scale_f32 v6, null, 0x459c4000, 0x459c4000, v4
	s_delay_alu instid0(VALU_DEP_4) | instskip(NEXT) | instid1(VALU_DEP_3)
	v_div_scale_f32 v24, null, 0x459c4000, 0x459c4000, v8
	v_rcp_f32_e32 v9, v5
	s_delay_alu instid0(VALU_DEP_2) | instskip(SKIP_3) | instid1(TRANS32_DEP_1)
	v_rcp_f32_e32 v17, v6
	v_div_scale_f32 v23, null, 0x459c4000, 0x459c4000, v7
	v_div_scale_f32 v18, vcc_lo, v3, 0x459c4000, v3
	v_div_scale_f32 v19, s0, v4, 0x459c4000, v4
	v_fma_f32 v22, -v6, v17, 1.0
	s_delay_alu instid0(TRANS32_DEP_2) | instskip(SKIP_2) | instid1(VALU_DEP_4)
	v_fma_f32 v21, -v5, v9, 1.0
	v_mul_f32_e32 v16, 4.0, v16
	v_div_scale_f32 v27, s1, v7, 0x459c4000, v7
	v_fmac_f32_e32 v17, v22, v17
	v_rcp_f32_e32 v22, v24
	v_fmac_f32_e32 v9, v21, v9
	v_rcp_f32_e32 v21, v23
	s_delay_alu instid0(VALU_DEP_2) | instskip(SKIP_1) | instid1(TRANS32_DEP_2)
	v_dual_mul_f32 v14, 4.0, v14 :: v_dual_mul_f32 v26, v19, v17
	v_div_scale_f32 v31, null, 0x459c4000, 0x459c4000, v16
	v_fma_f32 v32, -v24, v22, 1.0
	v_mul_f32_e32 v25, v18, v9
	s_delay_alu instid0(TRANS32_DEP_1) | instskip(SKIP_4) | instid1(VALU_DEP_4)
	v_fma_f32 v28, -v23, v21, 1.0
	v_fma_f32 v30, -v6, v26, v19
	v_mul_f32_e32 v2, 4.0, v2
	v_fmac_f32_e32 v22, v32, v22
	v_fma_f32 v29, -v5, v25, v18
	v_fmac_f32_e32 v26, v30, v17
	v_fmac_f32_e32 v21, v28, v21
	v_div_scale_f32 v28, null, 0x459c4000, 0x459c4000, v15
	s_delay_alu instid0(VALU_DEP_3) | instskip(SKIP_1) | instid1(VALU_DEP_2)
	v_dual_fmac_f32 v25, v29, v9 :: v_dual_fma_f32 v6, -v6, v26, v19
	v_div_scale_f32 v29, null, 0x459c4000, 0x459c4000, v14
	v_fma_f32 v5, -v5, v25, v18
	v_mul_f32_e32 v18, v27, v21
	s_delay_alu instid0(VALU_DEP_3) | instskip(NEXT) | instid1(VALU_DEP_1)
	v_rcp_f32_e32 v33, v29
	v_fma_f32 v19, -v23, v18, v27
	s_delay_alu instid0(VALU_DEP_3)
	v_div_fmas_f32 v5, v5, v9, v25
	s_mov_b32 vcc_lo, s0
	v_rcp_f32_e32 v25, v28
	v_div_fmas_f32 v6, v6, v17, v26
	v_rcp_f32_e32 v17, v31
	v_div_scale_f32 v9, s0, v8, 0x459c4000, v8
	v_fma_f32 v34, -v29, v33, 1.0
	s_mov_b32 vcc_lo, s1
	s_delay_alu instid0(TRANS32_DEP_2) | instskip(NEXT) | instid1(VALU_DEP_3)
	v_fma_f32 v32, -v28, v25, 1.0
	v_mul_f32_e32 v26, v9, v22
	s_delay_alu instid0(TRANS32_DEP_1) | instskip(SKIP_3) | instid1(VALU_DEP_4)
	v_fma_f32 v30, -v31, v17, 1.0
	v_fmac_f32_e32 v33, v34, v33
	v_div_scale_f32 v34, s4, v14, 0x459c4000, v14
	v_fmac_f32_e32 v25, v32, v25
	v_fmac_f32_e32 v17, v30, v17
	v_div_scale_f32 v30, s2, v16, 0x459c4000, v16
	v_div_scale_f32 v32, s3, v15, 0x459c4000, v15
	v_dual_fmac_f32 v18, v19, v21 :: v_dual_fma_f32 v19, -v24, v26, v9
	v_div_fixup_f32 v4, v6, 0x459c4000, v4
	v_div_fixup_f32 v3, v5, 0x459c4000, v3
	s_delay_alu instid0(VALU_DEP_3) | instskip(NEXT) | instid1(VALU_DEP_4)
	v_fma_f32 v23, -v23, v18, v27
	v_dual_fmac_f32 v26, v19, v22 :: v_dual_mul_f32 v19, v30, v17
	v_mul_f32_e32 v27, v32, v25
	v_mul_f32_e32 v35, v34, v33
	s_delay_alu instid0(VALU_DEP_4) | instskip(NEXT) | instid1(VALU_DEP_4)
	v_div_fmas_f32 v18, v23, v21, v18
	v_dual_fma_f32 v9, -v24, v26, v9 :: v_dual_fma_f32 v21, -v31, v19, v30
	s_delay_alu instid0(VALU_DEP_4) | instskip(SKIP_1) | instid1(VALU_DEP_3)
	v_fma_f32 v23, -v28, v27, v32
	s_mov_b32 vcc_lo, s0
	v_div_fixup_f32 v7, v18, 0x459c4000, v7
	s_delay_alu instid0(VALU_DEP_3)
	v_div_fmas_f32 v9, v9, v22, v26
	s_mov_b32 vcc_lo, s2
	v_fmac_f32_e32 v27, v23, v25
	v_fmac_f32_e32 v19, v21, v17
	v_fma_f32 v21, -v29, v35, v34
	v_div_scale_f32 v23, null, 0x459c4000, 0x459c4000, v2
	s_delay_alu instid0(VALU_DEP_4) | instskip(NEXT) | instid1(VALU_DEP_3)
	v_fma_f32 v24, -v28, v27, v32
	v_dual_fma_f32 v22, -v31, v19, v30 :: v_dual_fmac_f32 v35, v21, v33
	s_delay_alu instid0(VALU_DEP_3) | instskip(SKIP_2) | instid1(VALU_DEP_2)
	v_rcp_f32_e32 v21, v23
	v_div_fixup_f32 v8, v9, 0x459c4000, v8
	s_mov_b32 s0, exec_lo
	v_div_fmas_f32 v17, v22, v17, v19
	s_mov_b32 vcc_lo, s3
	v_div_fmas_f32 v22, v24, v25, v27
	s_delay_alu instid0(TRANS32_DEP_1)
	v_fma_f32 v24, -v23, v21, 1.0
	v_fma_f32 v19, -v29, v35, v34
	s_mov_b32 vcc_lo, s4
	v_div_fixup_f32 v16, v17, 0x459c4000, v16
	v_div_fixup_f32 v15, v22, 0x459c4000, v15
	v_fmac_f32_e32 v21, v24, v21
	v_div_fmas_f32 v19, v19, v33, v35
	v_div_scale_f32 v22, vcc_lo, v2, 0x459c4000, v2
	s_delay_alu instid0(VALU_DEP_2) | instskip(NEXT) | instid1(VALU_DEP_1)
	v_div_fixup_f32 v14, v19, 0x459c4000, v14
	v_add_f32_e32 v14, v14, v15
	s_delay_alu instid0(VALU_DEP_1) | instskip(NEXT) | instid1(VALU_DEP_1)
	v_add_f32_e32 v14, v14, v16
	v_add_f32_e32 v8, v14, v8
	s_delay_alu instid0(VALU_DEP_1) | instskip(NEXT) | instid1(VALU_DEP_1)
	v_dual_mul_f32 v17, v22, v21 :: v_dual_add_f32 v7, v8, v7
	v_fma_f32 v9, -v23, v17, v22
	s_delay_alu instid0(VALU_DEP_1) | instskip(NEXT) | instid1(VALU_DEP_1)
	v_dual_add_f32 v4, v7, v4 :: v_dual_fmac_f32 v17, v9, v21
	v_dual_add_f32 v3, v4, v3 :: v_dual_fma_f32 v6, -v23, v17, v22
	s_delay_alu instid0(VALU_DEP_1) | instskip(NEXT) | instid1(VALU_DEP_1)
	v_div_fmas_f32 v5, v6, v21, v17
	v_div_fixup_f32 v2, v5, 0x459c4000, v2
	s_delay_alu instid0(VALU_DEP_1) | instskip(NEXT) | instid1(VALU_DEP_1)
	v_add_f32_e32 v2, v3, v2
	v_mov_b32_dpp v3, v2 quad_perm:[1,0,3,2] row_mask:0xf bank_mask:0xf
	s_delay_alu instid0(VALU_DEP_1) | instskip(NEXT) | instid1(VALU_DEP_1)
	v_add_f32_e32 v2, v2, v3
	v_mov_b32_dpp v3, v2 quad_perm:[2,3,0,1] row_mask:0xf bank_mask:0xf
	s_delay_alu instid0(VALU_DEP_1) | instskip(NEXT) | instid1(VALU_DEP_1)
	v_add_f32_e32 v2, v2, v3
	v_mov_b32_dpp v3, v2 row_ror:4 row_mask:0xf bank_mask:0xf
	s_delay_alu instid0(VALU_DEP_1) | instskip(NEXT) | instid1(VALU_DEP_1)
	v_add_f32_e32 v2, v2, v3
	v_mov_b32_dpp v3, v2 row_ror:8 row_mask:0xf bank_mask:0xf
	s_delay_alu instid0(VALU_DEP_1)
	v_add_f32_e32 v2, v2, v3
	ds_swizzle_b32 v3, v2 offset:swizzle(BROADCAST,32,15)
	s_wait_dscnt 0x0
	v_dual_add_f32 v2, v2, v3 :: v_dual_mov_b32 v3, 0
	ds_bpermute_b32 v3, v3, v2 offset:124
	v_mbcnt_lo_u32_b32 v2, -1, 0
	s_delay_alu instid0(VALU_DEP_1)
	v_cmpx_eq_u32_e32 0, v2
	s_cbranch_execz .LBB27_308
; %bb.307:
	v_lshrrev_b32_e32 v4, 3, v50
	s_delay_alu instid0(VALU_DEP_1)
	v_and_b32_e32 v4, 0x7c, v4
	s_wait_dscnt 0x0
	ds_store_b32 v4, v3 offset:160
.LBB27_308:
	s_or_b32 exec_lo, exec_lo, s0
	s_delay_alu instid0(SALU_CYCLE_1)
	s_mov_b32 s0, exec_lo
	s_wait_storecnt 0x0
	s_wait_loadcnt_dscnt 0x0
	s_barrier_signal -1
	s_barrier_wait -1
	v_cmpx_gt_u32_e32 32, v50
	s_cbranch_execz .LBB27_310
; %bb.309:
	v_and_b32_e32 v3, 7, v2
	s_delay_alu instid0(VALU_DEP_1) | instskip(SKIP_1) | instid1(VALU_DEP_1)
	v_cmp_ne_u32_e32 vcc_lo, 7, v3
	v_add_co_ci_u32_e64 v5, null, 0, v2, vcc_lo
	v_lshlrev_b32_e32 v5, 2, v5
	v_cmp_gt_u32_e32 vcc_lo, 6, v3
	v_lshlrev_b32_e32 v4, 2, v3
	v_cndmask_b32_e64 v3, 0, 2, vcc_lo
	s_delay_alu instid0(VALU_DEP_1)
	v_add_lshl_u32 v3, v3, v2, 2
	v_lshlrev_b32_e32 v2, 2, v2
	ds_load_b32 v4, v4 offset:160
	v_or_b32_e32 v2, 16, v2
	s_wait_dscnt 0x0
	ds_bpermute_b32 v5, v5, v4
	s_wait_dscnt 0x0
	v_add_f32_e32 v4, v4, v5
	ds_bpermute_b32 v3, v3, v4
	s_wait_dscnt 0x0
	v_add_f32_e32 v3, v4, v3
	;; [unrolled: 3-line block ×3, first 2 shown]
.LBB27_310:
	s_or_b32 exec_lo, exec_lo, s0
                                        ; implicit-def: $vgpr22
	s_and_not1_saveexec_b32 s21, s13
	s_cbranch_execz .LBB27_18
.LBB27_311:
	v_mov_b32_e32 v2, 0
	v_subrev_nc_u32_e32 v21, s12, v10
	s_mov_b32 s12, exec_lo
	s_delay_alu instid0(VALU_DEP_2)
	v_dual_mov_b32 v3, v2 :: v_dual_mov_b32 v4, v2
	v_dual_mov_b32 v5, v2 :: v_dual_mov_b32 v6, v2
	;; [unrolled: 1-line block ×3, first 2 shown]
	v_mov_b32_e32 v7, v2
	v_cmpx_lt_u32_e64 v50, v21
	s_cbranch_execz .LBB27_634
; %bb.312:
	v_dual_mov_b32 v3, 1 :: v_dual_add_nc_u32 v2, v22, v50
	s_mov_b32 s13, exec_lo
	s_delay_alu instid0(VALU_DEP_1) | instskip(NEXT) | instid1(VALU_DEP_1)
	v_mul_lo_u32 v2, 0x1388, v2
	v_cmpx_ne_u32_e32 0, v2
	s_cbranch_execz .LBB27_631
; %bb.313:
	v_mov_b32_e32 v3, 0
	v_mov_b64_e32 v[6:7], 1
	s_mov_b64 s[8:9], 0xbc8f
	s_mov_b64 s[0:1], 0xfffffffd
	;; [unrolled: 1-line block ×3, first 2 shown]
	v_mov_b64_e32 v[4:5], v[2:3]
	s_mov_b64 s[4:5], 0x80000001
	s_mov_b32 s7, 0
	s_mov_b32 s14, 0
	s_branch .LBB27_315
.LBB27_314:                             ;   in Loop: Header=BB27_315 Depth=1
	s_or_b32 exec_lo, exec_lo, s6
	s_mul_u64 s[8:9], s[8:9], s[8:9]
	s_mov_b32 s17, s7
	s_and_b64 s[18:19], s[8:9], s[0:1]
	s_mov_b32 s6, s9
	s_mul_u64 s[22:23], s[18:19], 3
	s_mul_u64 s[24:25], s[6:7], 3
	s_mov_b32 s16, s23
	s_mul_u64 s[18:19], s[18:19], s[4:5]
	s_add_nc_u64 s[16:17], s[24:25], s[16:17]
	v_lshrrev_b64 v[8:9], 1, v[4:5]
	s_and_b64 s[24:25], s[16:17], s[2:3]
	s_mov_b32 s23, s7
	s_add_nc_u64 s[18:19], s[18:19], s[24:25]
	s_mov_b32 s27, s7
	s_mov_b32 s22, s17
	;; [unrolled: 1-line block ×3, first 2 shown]
	s_mul_u64 s[18:19], s[6:7], s[4:5]
	s_add_nc_u64 s[16:17], s[22:23], s[26:27]
	v_cmp_gt_u64_e32 vcc_lo, 2, v[4:5]
	s_add_nc_u64 s[16:17], s[18:19], s[16:17]
	v_mov_b64_e32 v[4:5], v[8:9]
	s_lshr_b64 s[16:17], s[16:17], 30
	s_delay_alu instid0(SALU_CYCLE_1)
	s_mul_u64 s[16:17], s[16:17], 0x7fffffff
	s_or_b32 s14, vcc_lo, s14
	s_sub_nc_u64 s[8:9], s[8:9], s[16:17]
	s_and_not1_b32 exec_lo, exec_lo, s14
	s_cbranch_execz .LBB27_630
.LBB27_315:                             ; =>This Inner Loop Header: Depth=1
	s_delay_alu instid0(VALU_DEP_1) | instskip(SKIP_1) | instid1(VALU_DEP_1)
	v_and_b32_e32 v2, 1, v4
	s_mov_b32 s6, exec_lo
	v_cmpx_eq_u32_e32 1, v2
	s_cbranch_execz .LBB27_314
; %bb.316:                              ;   in Loop: Header=BB27_315 Depth=1
	v_mul_u64_e32 v[6:7], s[8:9], v[6:7]
	s_delay_alu instid0(VALU_DEP_1) | instskip(NEXT) | instid1(VALU_DEP_1)
	v_mov_b32_e32 v2, v6
	v_mul_u64_e32 v[8:9], 5, v[2:3]
	s_delay_alu instid0(VALU_DEP_1) | instskip(NEXT) | instid1(VALU_DEP_1)
	v_mov_b32_e32 v2, v9
	v_mad_nc_u64_u32 v[8:9], v7, 5, v[2:3]
	s_delay_alu instid0(VALU_DEP_1) | instskip(NEXT) | instid1(VALU_DEP_1)
	v_dual_mov_b32 v2, v9 :: v_dual_mov_b32 v9, v3
	v_mad_nc_u64_u32 v[8:9], v6, 2, v[8:9]
	s_delay_alu instid0(VALU_DEP_1) | instskip(NEXT) | instid1(VALU_DEP_1)
	v_dual_mov_b32 v8, v9 :: v_dual_mov_b32 v9, v3
	v_add_nc_u64_e32 v[8:9], v[2:3], v[8:9]
	s_delay_alu instid0(VALU_DEP_1) | instskip(NEXT) | instid1(VALU_DEP_1)
	v_mad_nc_u64_u32 v[8:9], v7, 2, v[8:9]
	v_sub_nc_u64_e32 v[14:15], v[6:7], v[8:9]
	s_delay_alu instid0(VALU_DEP_1) | instskip(NEXT) | instid1(VALU_DEP_1)
	v_lshrrev_b64 v[14:15], 1, v[14:15]
	v_add_nc_u64_e32 v[8:9], v[14:15], v[8:9]
	s_delay_alu instid0(VALU_DEP_1) | instskip(NEXT) | instid1(VALU_DEP_1)
	v_lshrrev_b64 v[8:9], 30, v[8:9]
	v_mul_u64_e32 v[8:9], 0x7fffffff, v[8:9]
	s_delay_alu instid0(VALU_DEP_1)
	v_sub_nc_u64_e32 v[6:7], v[6:7], v[8:9]
	s_branch .LBB27_314
.LBB27_317:
	s_or_b32 exec_lo, exec_lo, s13
	v_add_min_u32_e64 v3, 0x80000001, v8, v8
	s_delay_alu instid0(VALU_DEP_1)
	v_add_min_u32_e64 v3, 0x80000001, v3, v3
.LBB27_318:
	s_or_b32 exec_lo, exec_lo, s12
	v_mov_b32_e32 v17, 0
	s_movk_i32 s3, 0x1388
	s_brev_b32 s2, 12
.LBB27_319:                             ; =>This Inner Loop Header: Depth=1
	v_mul_hi_u32 v4, 0xbc8f1391, v3
	s_delay_alu instid0(VALU_DEP_1) | instskip(NEXT) | instid1(VALU_DEP_1)
	v_lshrrev_b32_e32 v4, 15, v4
	v_mul_u32_u24_e32 v5, 0xadc8, v4
	s_delay_alu instid0(VALU_DEP_1) | instskip(SKIP_1) | instid1(VALU_DEP_2)
	v_sub_nc_u32_e32 v3, v3, v5
	v_mul_u32_u24_e32 v4, 0xd47, v4
	v_mul_lo_u32 v3, 0xbc8f, v3
	s_delay_alu instid0(VALU_DEP_2) | instskip(SKIP_1) | instid1(VALU_DEP_3)
	v_xor_b32_e32 v5, 0x7fffffff, v4
	v_sub_nc_u32_e32 v6, 0, v4
	v_cmp_lt_u32_e32 vcc_lo, v3, v4
	s_delay_alu instid0(VALU_DEP_2) | instskip(NEXT) | instid1(VALU_DEP_1)
	v_cndmask_b32_e32 v4, v6, v5, vcc_lo
	v_add_nc_u32_e32 v3, v4, v3
	s_delay_alu instid0(VALU_DEP_1) | instskip(NEXT) | instid1(VALU_DEP_1)
	v_mul_hi_u32 v4, 0xbc8f1391, v3
	v_lshrrev_b32_e32 v4, 15, v4
	s_delay_alu instid0(VALU_DEP_1) | instskip(SKIP_1) | instid1(VALU_DEP_2)
	v_mul_u32_u24_e32 v5, 0xadc8, v4
	v_mul_u32_u24_e32 v4, 0xd47, v4
	v_sub_nc_u32_e32 v5, v3, v5
	s_delay_alu instid0(VALU_DEP_2) | instskip(SKIP_1) | instid1(VALU_DEP_3)
	v_xor_b32_e32 v6, 0x7fffffff, v4
	v_add_nc_u32_e32 v3, -1, v3
	v_mul_lo_u32 v5, 0xbc8f, v5
	v_sub_nc_u32_e32 v7, 0, v4
	s_delay_alu instid0(VALU_DEP_2) | instskip(NEXT) | instid1(VALU_DEP_2)
	v_cmp_lt_u32_e32 vcc_lo, v5, v4
	v_cndmask_b32_e32 v4, v7, v6, vcc_lo
	s_delay_alu instid0(VALU_DEP_1) | instskip(NEXT) | instid1(VALU_DEP_1)
	v_add_nc_u32_e32 v5, v4, v5
	v_mul_hi_u32 v4, 0xbc8f1391, v5
	s_delay_alu instid0(VALU_DEP_1) | instskip(NEXT) | instid1(VALU_DEP_1)
	v_lshrrev_b32_e32 v4, 15, v4
	v_mul_u32_u24_e32 v6, 0xadc8, v4
	v_mul_u32_u24_e32 v4, 0xd47, v4
	s_delay_alu instid0(VALU_DEP_2) | instskip(NEXT) | instid1(VALU_DEP_2)
	v_sub_nc_u32_e32 v6, v5, v6
	v_xor_b32_e32 v7, 0x7fffffff, v4
	s_delay_alu instid0(VALU_DEP_2) | instskip(SKIP_1) | instid1(VALU_DEP_2)
	v_mul_lo_u32 v6, 0xbc8f, v6
	v_sub_nc_u32_e32 v8, 0, v4
	v_cmp_lt_u32_e32 vcc_lo, v6, v4
	s_delay_alu instid0(VALU_DEP_2) | instskip(NEXT) | instid1(VALU_DEP_1)
	v_dual_cndmask_b32 v4, v8, v7, vcc_lo :: v_dual_add_f32 v8, 1.0, v17
	v_add_nc_u32_e32 v6, v4, v6
	s_delay_alu instid0(VALU_DEP_1) | instskip(NEXT) | instid1(VALU_DEP_1)
	v_mul_hi_u32 v4, 0xbc8f1391, v6
	v_lshrrev_b32_e32 v4, 15, v4
	s_delay_alu instid0(VALU_DEP_1) | instskip(SKIP_2) | instid1(VALU_DEP_3)
	v_mul_u32_u24_e32 v7, 0xadc8, v4
	v_mul_u32_u24_e32 v9, 0xd47, v4
	v_cvt_f32_u32_e32 v4, v3
	v_sub_nc_u32_e32 v7, v6, v7
	s_delay_alu instid0(VALU_DEP_3) | instskip(SKIP_1) | instid1(VALU_DEP_3)
	v_xor_b32_e32 v3, 0x7fffffff, v9
	v_dual_sub_nc_u32 v22, 0, v9 :: v_dual_add_nc_u32 v6, -1, v6
	v_mul_lo_u32 v7, 0xbc8f, v7
	s_delay_alu instid0(VALU_DEP_2) | instskip(NEXT) | instid1(VALU_DEP_2)
	v_cvt_f32_u32_e32 v6, v6
	v_cmp_lt_u32_e32 vcc_lo, v7, v9
	s_delay_alu instid0(VALU_DEP_4) | instskip(NEXT) | instid1(VALU_DEP_1)
	v_dual_add_nc_u32 v5, -1, v5 :: v_dual_cndmask_b32 v3, v22, v3, vcc_lo
	v_cvt_f32_u32_e32 v5, v5
	s_delay_alu instid0(VALU_DEP_2) | instskip(NEXT) | instid1(VALU_DEP_2)
	v_add_nc_u32_e32 v3, v3, v7
	v_pk_fma_f32 v[4:5], v[4:5], s[2:3], 0 op_sel_hi:[1,0,0]
	s_delay_alu instid0(VALU_DEP_1) | instskip(NEXT) | instid1(VALU_DEP_1)
	v_pk_mul_f32 v[4:5], v[4:5], v[4:5]
	v_dual_add_nc_u32 v7, -1, v3 :: v_dual_add_f32 v9, v4, v5
	s_delay_alu instid0(VALU_DEP_1) | instskip(NEXT) | instid1(VALU_DEP_2)
	v_cvt_f32_u32_e32 v7, v7
	v_cmp_gt_f32_e32 vcc_lo, 0xf800000, v9
	s_delay_alu instid0(VALU_DEP_2) | instskip(SKIP_1) | instid1(SALU_CYCLE_1)
	v_pk_fma_f32 v[4:5], v[6:7], s[2:3], 0 op_sel_hi:[1,0,0]
	s_add_co_i32 s3, s3, -2
	s_cmp_lg_u32 s3, 0
	s_delay_alu instid0(VALU_DEP_1) | instskip(NEXT) | instid1(VALU_DEP_1)
	v_pk_mul_f32 v[4:5], v[4:5], v[4:5]
	v_add_f32_e32 v4, v4, v5
	s_delay_alu instid0(VALU_DEP_1) | instskip(NEXT) | instid1(VALU_DEP_1)
	v_dual_mul_f32 v6, 0x4f800000, v9 :: v_dual_mul_f32 v7, 0x4f800000, v4
	v_cndmask_b32_e32 v6, v9, v6, vcc_lo
	v_cmp_gt_f32_e64 s0, 0xf800000, v4
	s_delay_alu instid0(VALU_DEP_2) | instskip(SKIP_1) | instid1(TRANS32_DEP_1)
	v_sqrt_f32_e32 v5, v6
	v_nop
	v_dual_add_nc_u32 v9, -1, v5 :: v_dual_cndmask_b32 v4, v4, v7, s0
	s_delay_alu instid0(VALU_DEP_1) | instskip(NEXT) | instid1(VALU_DEP_2)
	v_dual_add_nc_u32 v7, 1, v5 :: v_dual_fma_f32 v22, -v9, v5, v6
	v_sqrt_f32_e32 v23, v4
	s_delay_alu instid0(VALU_DEP_1) | instskip(NEXT) | instid1(VALU_DEP_2)
	v_fma_f32 v24, -v7, v5, v6
	v_cmp_ge_f32_e64 s1, 0, v22
	s_delay_alu instid0(TRANS32_DEP_1) | instid1(VALU_DEP_1)
	v_dual_cndmask_b32 v5, v5, v9, s1 :: v_dual_add_nc_u32 v9, -1, v23
	s_delay_alu instid0(VALU_DEP_3) | instskip(NEXT) | instid1(VALU_DEP_1)
	v_cmp_lt_f32_e64 s1, 0, v24
	v_cndmask_b32_e64 v5, v5, v7, s1
	s_delay_alu instid0(VALU_DEP_3) | instskip(NEXT) | instid1(VALU_DEP_1)
	v_dual_add_nc_u32 v7, 1, v23 :: v_dual_fma_f32 v22, -v9, v23, v4
	v_fma_f32 v25, -v7, v23, v4
	s_delay_alu instid0(VALU_DEP_2) | instskip(NEXT) | instid1(VALU_DEP_1)
	v_cmp_ge_f32_e64 s1, 0, v22
	v_cndmask_b32_e64 v9, v23, v9, s1
	v_mul_f32_e32 v24, 0x37800000, v5
	s_delay_alu instid0(VALU_DEP_4) | instskip(NEXT) | instid1(VALU_DEP_1)
	v_cmp_lt_f32_e64 s1, 0, v25
	v_cndmask_b32_e64 v7, v9, v7, s1
	s_delay_alu instid0(VALU_DEP_3) | instskip(SKIP_1) | instid1(VALU_DEP_2)
	v_cndmask_b32_e32 v5, v5, v24, vcc_lo
	v_cmp_class_f32_e64 vcc_lo, v6, 0x260
	v_cndmask_b32_e32 v5, v5, v6, vcc_lo
	s_delay_alu instid0(VALU_DEP_1) | instskip(SKIP_2) | instid1(VALU_DEP_2)
	v_cmp_nge_f32_e32 vcc_lo, 1.0, v5
	v_dual_cndmask_b32 v5, v8, v17 :: v_dual_mul_f32 v6, 0x37800000, v7
	v_cmp_class_f32_e64 vcc_lo, v4, 0x260
	v_dual_cndmask_b32 v6, v7, v6, s0 :: v_dual_add_f32 v7, 1.0, v5
	s_delay_alu instid0(VALU_DEP_1) | instskip(NEXT) | instid1(VALU_DEP_1)
	v_cndmask_b32_e32 v4, v6, v4, vcc_lo
	v_cmp_nge_f32_e32 vcc_lo, 1.0, v4
	s_delay_alu instid0(VALU_DEP_3)
	v_cndmask_b32_e32 v17, v7, v5, vcc_lo
	s_cbranch_scc1 .LBB27_319
; %bb.320:
	v_dual_mov_b32 v3, 1 :: v_dual_add_nc_u32 v4, 0x9c4000, v2
	s_mov_b32 s1, 0
	s_mov_b32 s12, exec_lo
	s_delay_alu instid0(VALU_DEP_1)
	v_cmpx_ne_u32_e32 0, v4
	s_cbranch_execz .LBB27_334
; %bb.321:
	v_mov_b32_e32 v5, 0
	v_mov_b64_e32 v[8:9], 1
	s_mov_b64 s[8:9], 0xbc8f
	s_mov_b64 s[2:3], 0xfffffffd
	;; [unrolled: 1-line block ×3, first 2 shown]
	v_mov_b64_e32 v[6:7], v[4:5]
	s_mov_b64 s[6:7], 0x80000001
	s_mov_b32 s13, 0
	s_branch .LBB27_323
.LBB27_322:                             ;   in Loop: Header=BB27_323 Depth=1
	s_or_b32 exec_lo, exec_lo, s0
	s_mul_u64 s[8:9], s[8:9], s[8:9]
	s_mov_b32 s15, s1
	s_and_b64 s[16:17], s[8:9], s[2:3]
	s_mov_b32 s0, s9
	s_mul_u64 s[20:21], s[16:17], 3
	s_mul_u64 s[22:23], s[0:1], 3
	s_mov_b32 s14, s21
	s_mul_u64 s[16:17], s[16:17], s[6:7]
	s_add_nc_u64 s[14:15], s[22:23], s[14:15]
	v_lshrrev_b64 v[22:23], 1, v[6:7]
	s_and_b64 s[22:23], s[14:15], s[4:5]
	s_mov_b32 s21, s1
	s_add_nc_u64 s[16:17], s[16:17], s[22:23]
	s_mov_b32 s25, s1
	s_mov_b32 s20, s15
	;; [unrolled: 1-line block ×3, first 2 shown]
	s_mul_u64 s[16:17], s[0:1], s[6:7]
	s_add_nc_u64 s[14:15], s[20:21], s[24:25]
	v_cmp_gt_u64_e32 vcc_lo, 2, v[6:7]
	s_add_nc_u64 s[14:15], s[16:17], s[14:15]
	v_mov_b64_e32 v[6:7], v[22:23]
	s_lshr_b64 s[14:15], s[14:15], 30
	s_delay_alu instid0(SALU_CYCLE_1)
	s_mul_u64 s[14:15], s[14:15], 0x7fffffff
	s_or_b32 s13, vcc_lo, s13
	s_sub_nc_u64 s[8:9], s[8:9], s[14:15]
	s_and_not1_b32 exec_lo, exec_lo, s13
	s_cbranch_execz .LBB27_333
.LBB27_323:                             ; =>This Inner Loop Header: Depth=1
	s_delay_alu instid0(VALU_DEP_1) | instskip(SKIP_1) | instid1(VALU_DEP_1)
	v_and_b32_e32 v3, 1, v6
	s_mov_b32 s0, exec_lo
	v_cmpx_eq_u32_e32 1, v3
	s_cbranch_execz .LBB27_322
; %bb.324:                              ;   in Loop: Header=BB27_323 Depth=1
	v_mul_u64_e32 v[8:9], s[8:9], v[8:9]
	s_delay_alu instid0(VALU_DEP_1) | instskip(NEXT) | instid1(VALU_DEP_1)
	v_mov_b32_e32 v4, v8
	v_mul_u64_e32 v[22:23], 5, v[4:5]
	s_delay_alu instid0(VALU_DEP_1) | instskip(NEXT) | instid1(VALU_DEP_1)
	v_mov_b32_e32 v4, v23
	v_mad_nc_u64_u32 v[22:23], v9, 5, v[4:5]
	s_delay_alu instid0(VALU_DEP_1) | instskip(NEXT) | instid1(VALU_DEP_1)
	v_dual_mov_b32 v4, v23 :: v_dual_mov_b32 v23, v5
	v_mad_nc_u64_u32 v[22:23], v8, 2, v[22:23]
	s_delay_alu instid0(VALU_DEP_1) | instskip(NEXT) | instid1(VALU_DEP_1)
	v_dual_mov_b32 v22, v23 :: v_dual_mov_b32 v23, v5
	v_add_nc_u64_e32 v[22:23], v[4:5], v[22:23]
	s_delay_alu instid0(VALU_DEP_1) | instskip(NEXT) | instid1(VALU_DEP_1)
	v_mad_nc_u64_u32 v[22:23], v9, 2, v[22:23]
	v_sub_nc_u64_e32 v[24:25], v[8:9], v[22:23]
	s_delay_alu instid0(VALU_DEP_1) | instskip(NEXT) | instid1(VALU_DEP_1)
	v_lshrrev_b64 v[24:25], 1, v[24:25]
	v_add_nc_u64_e32 v[22:23], v[24:25], v[22:23]
	s_delay_alu instid0(VALU_DEP_1) | instskip(NEXT) | instid1(VALU_DEP_1)
	v_lshrrev_b64 v[22:23], 30, v[22:23]
	v_mul_u64_e32 v[22:23], 0x7fffffff, v[22:23]
	s_delay_alu instid0(VALU_DEP_1)
	v_sub_nc_u64_e32 v[8:9], v[8:9], v[22:23]
	s_branch .LBB27_322
.LBB27_325:
	s_or_b32 exec_lo, exec_lo, s13
	v_add_min_u32_e64 v1, 0x80000001, v6, v6
	s_delay_alu instid0(VALU_DEP_1)
	v_add_min_u32_e64 v1, 0x80000001, v1, v1
.LBB27_326:
	s_or_b32 exec_lo, exec_lo, s12
	v_mov_b32_e32 v15, 0
	s_movk_i32 s3, 0x1388
	s_brev_b32 s2, 12
.LBB27_327:                             ; =>This Inner Loop Header: Depth=1
	v_mul_hi_u32 v2, 0xbc8f1391, v1
	s_delay_alu instid0(VALU_DEP_1) | instskip(NEXT) | instid1(VALU_DEP_1)
	v_lshrrev_b32_e32 v2, 15, v2
	v_mul_u32_u24_e32 v3, 0xadc8, v2
	s_delay_alu instid0(VALU_DEP_1) | instskip(SKIP_1) | instid1(VALU_DEP_2)
	v_sub_nc_u32_e32 v1, v1, v3
	v_mul_u32_u24_e32 v2, 0xd47, v2
	v_mul_lo_u32 v1, 0xbc8f, v1
	s_delay_alu instid0(VALU_DEP_2) | instskip(SKIP_1) | instid1(VALU_DEP_3)
	v_xor_b32_e32 v3, 0x7fffffff, v2
	v_sub_nc_u32_e32 v4, 0, v2
	v_cmp_lt_u32_e32 vcc_lo, v1, v2
	s_delay_alu instid0(VALU_DEP_2) | instskip(NEXT) | instid1(VALU_DEP_1)
	v_cndmask_b32_e32 v2, v4, v3, vcc_lo
	v_add_nc_u32_e32 v1, v2, v1
	s_delay_alu instid0(VALU_DEP_1) | instskip(NEXT) | instid1(VALU_DEP_1)
	v_mul_hi_u32 v2, 0xbc8f1391, v1
	v_lshrrev_b32_e32 v2, 15, v2
	s_delay_alu instid0(VALU_DEP_1) | instskip(SKIP_1) | instid1(VALU_DEP_2)
	v_mul_u32_u24_e32 v3, 0xadc8, v2
	v_mul_u32_u24_e32 v2, 0xd47, v2
	v_sub_nc_u32_e32 v3, v1, v3
	s_delay_alu instid0(VALU_DEP_2) | instskip(SKIP_1) | instid1(VALU_DEP_3)
	v_xor_b32_e32 v4, 0x7fffffff, v2
	v_add_nc_u32_e32 v1, -1, v1
	v_mul_lo_u32 v3, 0xbc8f, v3
	v_sub_nc_u32_e32 v5, 0, v2
	s_delay_alu instid0(VALU_DEP_2) | instskip(NEXT) | instid1(VALU_DEP_2)
	v_cmp_lt_u32_e32 vcc_lo, v3, v2
	v_cndmask_b32_e32 v2, v5, v4, vcc_lo
	s_delay_alu instid0(VALU_DEP_1) | instskip(NEXT) | instid1(VALU_DEP_1)
	v_add_nc_u32_e32 v3, v2, v3
	v_mul_hi_u32 v2, 0xbc8f1391, v3
	s_delay_alu instid0(VALU_DEP_1) | instskip(NEXT) | instid1(VALU_DEP_1)
	v_lshrrev_b32_e32 v2, 15, v2
	v_mul_u32_u24_e32 v4, 0xadc8, v2
	v_mul_u32_u24_e32 v2, 0xd47, v2
	s_delay_alu instid0(VALU_DEP_2) | instskip(NEXT) | instid1(VALU_DEP_2)
	v_sub_nc_u32_e32 v4, v3, v4
	v_xor_b32_e32 v5, 0x7fffffff, v2
	s_delay_alu instid0(VALU_DEP_2) | instskip(SKIP_1) | instid1(VALU_DEP_2)
	v_mul_lo_u32 v4, 0xbc8f, v4
	v_sub_nc_u32_e32 v6, 0, v2
	v_cmp_lt_u32_e32 vcc_lo, v4, v2
	s_delay_alu instid0(VALU_DEP_2) | instskip(NEXT) | instid1(VALU_DEP_1)
	v_dual_cndmask_b32 v2, v6, v5, vcc_lo :: v_dual_add_f32 v6, 1.0, v15
	v_add_nc_u32_e32 v4, v2, v4
	s_delay_alu instid0(VALU_DEP_1) | instskip(NEXT) | instid1(VALU_DEP_1)
	v_mul_hi_u32 v2, 0xbc8f1391, v4
	v_lshrrev_b32_e32 v2, 15, v2
	s_delay_alu instid0(VALU_DEP_1) | instskip(SKIP_2) | instid1(VALU_DEP_3)
	v_mul_u32_u24_e32 v5, 0xadc8, v2
	v_mul_u32_u24_e32 v7, 0xd47, v2
	v_cvt_f32_u32_e32 v2, v1
	v_sub_nc_u32_e32 v5, v4, v5
	s_delay_alu instid0(VALU_DEP_3) | instskip(SKIP_1) | instid1(VALU_DEP_3)
	v_xor_b32_e32 v1, 0x7fffffff, v7
	v_dual_sub_nc_u32 v16, 0, v7 :: v_dual_add_nc_u32 v4, -1, v4
	v_mul_lo_u32 v5, 0xbc8f, v5
	s_delay_alu instid0(VALU_DEP_2) | instskip(NEXT) | instid1(VALU_DEP_2)
	v_cvt_f32_u32_e32 v4, v4
	v_cmp_lt_u32_e32 vcc_lo, v5, v7
	s_delay_alu instid0(VALU_DEP_4) | instskip(NEXT) | instid1(VALU_DEP_1)
	v_dual_add_nc_u32 v3, -1, v3 :: v_dual_cndmask_b32 v1, v16, v1, vcc_lo
	v_cvt_f32_u32_e32 v3, v3
	s_delay_alu instid0(VALU_DEP_2) | instskip(NEXT) | instid1(VALU_DEP_2)
	v_add_nc_u32_e32 v1, v1, v5
	v_pk_fma_f32 v[2:3], v[2:3], s[2:3], 0 op_sel_hi:[1,0,0]
	s_delay_alu instid0(VALU_DEP_1) | instskip(NEXT) | instid1(VALU_DEP_1)
	v_pk_mul_f32 v[2:3], v[2:3], v[2:3]
	v_dual_add_nc_u32 v5, -1, v1 :: v_dual_add_f32 v7, v2, v3
	s_delay_alu instid0(VALU_DEP_1) | instskip(NEXT) | instid1(VALU_DEP_2)
	v_cvt_f32_u32_e32 v5, v5
	v_cmp_gt_f32_e32 vcc_lo, 0xf800000, v7
	s_delay_alu instid0(VALU_DEP_2) | instskip(SKIP_1) | instid1(SALU_CYCLE_1)
	v_pk_fma_f32 v[2:3], v[4:5], s[2:3], 0 op_sel_hi:[1,0,0]
	s_add_co_i32 s3, s3, -2
	s_cmp_lg_u32 s3, 0
	s_delay_alu instid0(VALU_DEP_1) | instskip(NEXT) | instid1(VALU_DEP_1)
	v_pk_mul_f32 v[2:3], v[2:3], v[2:3]
	v_add_f32_e32 v2, v2, v3
	s_delay_alu instid0(VALU_DEP_1) | instskip(NEXT) | instid1(VALU_DEP_1)
	v_dual_mul_f32 v4, 0x4f800000, v7 :: v_dual_mul_f32 v5, 0x4f800000, v2
	v_cndmask_b32_e32 v4, v7, v4, vcc_lo
	v_cmp_gt_f32_e64 s0, 0xf800000, v2
	s_delay_alu instid0(VALU_DEP_2) | instskip(SKIP_1) | instid1(TRANS32_DEP_1)
	v_sqrt_f32_e32 v3, v4
	v_nop
	v_dual_add_nc_u32 v7, -1, v3 :: v_dual_cndmask_b32 v2, v2, v5, s0
	s_delay_alu instid0(VALU_DEP_1) | instskip(NEXT) | instid1(VALU_DEP_2)
	v_dual_add_nc_u32 v5, 1, v3 :: v_dual_fma_f32 v16, -v7, v3, v4
	v_sqrt_f32_e32 v17, v2
	s_delay_alu instid0(VALU_DEP_1) | instskip(NEXT) | instid1(VALU_DEP_2)
	v_fma_f32 v18, -v5, v3, v4
	v_cmp_ge_f32_e64 s1, 0, v16
	s_delay_alu instid0(TRANS32_DEP_1) | instid1(VALU_DEP_1)
	v_dual_cndmask_b32 v3, v3, v7, s1 :: v_dual_add_nc_u32 v7, -1, v17
	s_delay_alu instid0(VALU_DEP_3) | instskip(NEXT) | instid1(VALU_DEP_1)
	v_cmp_lt_f32_e64 s1, 0, v18
	v_cndmask_b32_e64 v3, v3, v5, s1
	s_delay_alu instid0(VALU_DEP_3) | instskip(NEXT) | instid1(VALU_DEP_1)
	v_dual_add_nc_u32 v5, 1, v17 :: v_dual_fma_f32 v16, -v7, v17, v2
	v_fma_f32 v19, -v5, v17, v2
	s_delay_alu instid0(VALU_DEP_2) | instskip(NEXT) | instid1(VALU_DEP_1)
	v_cmp_ge_f32_e64 s1, 0, v16
	v_cndmask_b32_e64 v7, v17, v7, s1
	v_mul_f32_e32 v18, 0x37800000, v3
	s_delay_alu instid0(VALU_DEP_4) | instskip(NEXT) | instid1(VALU_DEP_1)
	v_cmp_lt_f32_e64 s1, 0, v19
	v_cndmask_b32_e64 v5, v7, v5, s1
	s_delay_alu instid0(VALU_DEP_3) | instskip(SKIP_1) | instid1(VALU_DEP_2)
	v_cndmask_b32_e32 v3, v3, v18, vcc_lo
	v_cmp_class_f32_e64 vcc_lo, v4, 0x260
	v_cndmask_b32_e32 v3, v3, v4, vcc_lo
	s_delay_alu instid0(VALU_DEP_1) | instskip(SKIP_2) | instid1(VALU_DEP_2)
	v_cmp_nge_f32_e32 vcc_lo, 1.0, v3
	v_dual_cndmask_b32 v3, v6, v15 :: v_dual_mul_f32 v4, 0x37800000, v5
	v_cmp_class_f32_e64 vcc_lo, v2, 0x260
	v_dual_cndmask_b32 v4, v5, v4, s0 :: v_dual_add_f32 v5, 1.0, v3
	s_delay_alu instid0(VALU_DEP_1) | instskip(NEXT) | instid1(VALU_DEP_1)
	v_cndmask_b32_e32 v2, v4, v2, vcc_lo
	v_cmp_nge_f32_e32 vcc_lo, 1.0, v2
	s_delay_alu instid0(VALU_DEP_3)
	v_cndmask_b32_e32 v15, v5, v3, vcc_lo
	s_cbranch_scc1 .LBB27_327
; %bb.328:
	v_dual_mov_b32 v1, 1 :: v_dual_add_nc_u32 v2, 0x9c4000, v0
	s_mov_b32 s1, 0
	s_mov_b32 s12, exec_lo
	s_delay_alu instid0(VALU_DEP_1)
	v_cmpx_ne_u32_e32 0, v2
	s_cbranch_execz .LBB27_342
; %bb.329:
	v_mov_b32_e32 v3, 0
	v_mov_b64_e32 v[6:7], 1
	s_mov_b64 s[8:9], 0xbc8f
	s_mov_b64 s[2:3], 0xfffffffd
	;; [unrolled: 1-line block ×3, first 2 shown]
	v_mov_b64_e32 v[4:5], v[2:3]
	s_mov_b64 s[6:7], 0x80000001
	s_mov_b32 s13, 0
	s_branch .LBB27_331
.LBB27_330:                             ;   in Loop: Header=BB27_331 Depth=1
	s_or_b32 exec_lo, exec_lo, s0
	s_mul_u64 s[8:9], s[8:9], s[8:9]
	s_mov_b32 s15, s1
	s_and_b64 s[16:17], s[8:9], s[2:3]
	s_mov_b32 s0, s9
	s_mul_u64 s[18:19], s[16:17], 3
	s_mul_u64 s[20:21], s[0:1], 3
	s_mov_b32 s14, s19
	s_mul_u64 s[16:17], s[16:17], s[6:7]
	s_add_nc_u64 s[14:15], s[20:21], s[14:15]
	v_lshrrev_b64 v[16:17], 1, v[4:5]
	s_and_b64 s[20:21], s[14:15], s[4:5]
	s_mov_b32 s19, s1
	s_add_nc_u64 s[16:17], s[16:17], s[20:21]
	s_mov_b32 s23, s1
	s_mov_b32 s18, s15
	;; [unrolled: 1-line block ×3, first 2 shown]
	s_mul_u64 s[16:17], s[0:1], s[6:7]
	s_add_nc_u64 s[14:15], s[18:19], s[22:23]
	v_cmp_gt_u64_e32 vcc_lo, 2, v[4:5]
	s_add_nc_u64 s[14:15], s[16:17], s[14:15]
	v_mov_b64_e32 v[4:5], v[16:17]
	s_lshr_b64 s[14:15], s[14:15], 30
	s_delay_alu instid0(SALU_CYCLE_1)
	s_mul_u64 s[14:15], s[14:15], 0x7fffffff
	s_or_b32 s13, vcc_lo, s13
	s_sub_nc_u64 s[8:9], s[8:9], s[14:15]
	s_and_not1_b32 exec_lo, exec_lo, s13
	s_cbranch_execz .LBB27_341
.LBB27_331:                             ; =>This Inner Loop Header: Depth=1
	s_delay_alu instid0(VALU_DEP_1) | instskip(SKIP_1) | instid1(VALU_DEP_1)
	v_and_b32_e32 v1, 1, v4
	s_mov_b32 s0, exec_lo
	v_cmpx_eq_u32_e32 1, v1
	s_cbranch_execz .LBB27_330
; %bb.332:                              ;   in Loop: Header=BB27_331 Depth=1
	v_mul_u64_e32 v[6:7], s[8:9], v[6:7]
	s_delay_alu instid0(VALU_DEP_1) | instskip(NEXT) | instid1(VALU_DEP_1)
	v_mov_b32_e32 v2, v6
	v_mul_u64_e32 v[16:17], 5, v[2:3]
	s_delay_alu instid0(VALU_DEP_1) | instskip(NEXT) | instid1(VALU_DEP_1)
	v_mov_b32_e32 v2, v17
	v_mad_nc_u64_u32 v[16:17], v7, 5, v[2:3]
	s_delay_alu instid0(VALU_DEP_1) | instskip(NEXT) | instid1(VALU_DEP_1)
	v_dual_mov_b32 v2, v17 :: v_dual_mov_b32 v17, v3
	v_mad_nc_u64_u32 v[16:17], v6, 2, v[16:17]
	s_delay_alu instid0(VALU_DEP_1) | instskip(NEXT) | instid1(VALU_DEP_1)
	v_dual_mov_b32 v16, v17 :: v_dual_mov_b32 v17, v3
	v_add_nc_u64_e32 v[16:17], v[2:3], v[16:17]
	s_delay_alu instid0(VALU_DEP_1) | instskip(NEXT) | instid1(VALU_DEP_1)
	v_mad_nc_u64_u32 v[16:17], v7, 2, v[16:17]
	v_sub_nc_u64_e32 v[18:19], v[6:7], v[16:17]
	s_delay_alu instid0(VALU_DEP_1) | instskip(NEXT) | instid1(VALU_DEP_1)
	v_lshrrev_b64 v[18:19], 1, v[18:19]
	v_add_nc_u64_e32 v[16:17], v[18:19], v[16:17]
	s_delay_alu instid0(VALU_DEP_1) | instskip(NEXT) | instid1(VALU_DEP_1)
	v_lshrrev_b64 v[16:17], 30, v[16:17]
	v_mul_u64_e32 v[16:17], 0x7fffffff, v[16:17]
	s_delay_alu instid0(VALU_DEP_1)
	v_sub_nc_u64_e32 v[6:7], v[6:7], v[16:17]
	s_branch .LBB27_330
.LBB27_333:
	s_or_b32 exec_lo, exec_lo, s13
	v_add_min_u32_e64 v3, 0x80000001, v8, v8
	s_delay_alu instid0(VALU_DEP_1)
	v_add_min_u32_e64 v3, 0x80000001, v3, v3
.LBB27_334:
	s_or_b32 exec_lo, exec_lo, s12
	v_mov_b32_e32 v22, 0
	s_movk_i32 s3, 0x1388
	s_brev_b32 s2, 12
.LBB27_335:                             ; =>This Inner Loop Header: Depth=1
	v_mul_hi_u32 v4, 0xbc8f1391, v3
	s_delay_alu instid0(VALU_DEP_1) | instskip(NEXT) | instid1(VALU_DEP_1)
	v_lshrrev_b32_e32 v4, 15, v4
	v_mul_u32_u24_e32 v5, 0xadc8, v4
	s_delay_alu instid0(VALU_DEP_1) | instskip(SKIP_1) | instid1(VALU_DEP_2)
	v_sub_nc_u32_e32 v3, v3, v5
	v_mul_u32_u24_e32 v4, 0xd47, v4
	v_mul_lo_u32 v3, 0xbc8f, v3
	s_delay_alu instid0(VALU_DEP_2) | instskip(SKIP_1) | instid1(VALU_DEP_3)
	v_xor_b32_e32 v5, 0x7fffffff, v4
	v_sub_nc_u32_e32 v6, 0, v4
	v_cmp_lt_u32_e32 vcc_lo, v3, v4
	s_delay_alu instid0(VALU_DEP_2) | instskip(NEXT) | instid1(VALU_DEP_1)
	v_cndmask_b32_e32 v4, v6, v5, vcc_lo
	v_add_nc_u32_e32 v3, v4, v3
	s_delay_alu instid0(VALU_DEP_1) | instskip(NEXT) | instid1(VALU_DEP_1)
	v_mul_hi_u32 v4, 0xbc8f1391, v3
	v_lshrrev_b32_e32 v4, 15, v4
	s_delay_alu instid0(VALU_DEP_1) | instskip(SKIP_1) | instid1(VALU_DEP_2)
	v_mul_u32_u24_e32 v5, 0xadc8, v4
	v_mul_u32_u24_e32 v4, 0xd47, v4
	v_sub_nc_u32_e32 v5, v3, v5
	s_delay_alu instid0(VALU_DEP_2) | instskip(SKIP_1) | instid1(VALU_DEP_3)
	v_xor_b32_e32 v6, 0x7fffffff, v4
	v_add_nc_u32_e32 v3, -1, v3
	v_mul_lo_u32 v5, 0xbc8f, v5
	v_sub_nc_u32_e32 v7, 0, v4
	s_delay_alu instid0(VALU_DEP_2) | instskip(NEXT) | instid1(VALU_DEP_2)
	v_cmp_lt_u32_e32 vcc_lo, v5, v4
	v_cndmask_b32_e32 v4, v7, v6, vcc_lo
	s_delay_alu instid0(VALU_DEP_1) | instskip(NEXT) | instid1(VALU_DEP_1)
	v_add_nc_u32_e32 v5, v4, v5
	v_mul_hi_u32 v4, 0xbc8f1391, v5
	s_delay_alu instid0(VALU_DEP_1) | instskip(NEXT) | instid1(VALU_DEP_1)
	v_lshrrev_b32_e32 v4, 15, v4
	v_mul_u32_u24_e32 v6, 0xadc8, v4
	v_mul_u32_u24_e32 v4, 0xd47, v4
	s_delay_alu instid0(VALU_DEP_2) | instskip(NEXT) | instid1(VALU_DEP_2)
	v_sub_nc_u32_e32 v6, v5, v6
	v_xor_b32_e32 v7, 0x7fffffff, v4
	s_delay_alu instid0(VALU_DEP_2) | instskip(SKIP_1) | instid1(VALU_DEP_2)
	v_mul_lo_u32 v6, 0xbc8f, v6
	v_sub_nc_u32_e32 v8, 0, v4
	v_cmp_lt_u32_e32 vcc_lo, v6, v4
	s_delay_alu instid0(VALU_DEP_2) | instskip(NEXT) | instid1(VALU_DEP_1)
	v_dual_cndmask_b32 v4, v8, v7, vcc_lo :: v_dual_add_f32 v8, 1.0, v22
	v_add_nc_u32_e32 v6, v4, v6
	s_delay_alu instid0(VALU_DEP_1) | instskip(NEXT) | instid1(VALU_DEP_1)
	v_mul_hi_u32 v4, 0xbc8f1391, v6
	v_lshrrev_b32_e32 v4, 15, v4
	s_delay_alu instid0(VALU_DEP_1) | instskip(SKIP_2) | instid1(VALU_DEP_3)
	v_mul_u32_u24_e32 v7, 0xadc8, v4
	v_mul_u32_u24_e32 v9, 0xd47, v4
	v_cvt_f32_u32_e32 v4, v3
	v_sub_nc_u32_e32 v7, v6, v7
	s_delay_alu instid0(VALU_DEP_3) | instskip(SKIP_1) | instid1(VALU_DEP_3)
	v_xor_b32_e32 v3, 0x7fffffff, v9
	v_dual_sub_nc_u32 v23, 0, v9 :: v_dual_add_nc_u32 v6, -1, v6
	v_mul_lo_u32 v7, 0xbc8f, v7
	s_delay_alu instid0(VALU_DEP_2) | instskip(NEXT) | instid1(VALU_DEP_2)
	v_cvt_f32_u32_e32 v6, v6
	v_cmp_lt_u32_e32 vcc_lo, v7, v9
	s_delay_alu instid0(VALU_DEP_4) | instskip(NEXT) | instid1(VALU_DEP_1)
	v_dual_add_nc_u32 v5, -1, v5 :: v_dual_cndmask_b32 v3, v23, v3, vcc_lo
	v_cvt_f32_u32_e32 v5, v5
	s_delay_alu instid0(VALU_DEP_2) | instskip(NEXT) | instid1(VALU_DEP_2)
	v_add_nc_u32_e32 v3, v3, v7
	v_pk_fma_f32 v[4:5], v[4:5], s[2:3], 0 op_sel_hi:[1,0,0]
	s_delay_alu instid0(VALU_DEP_1) | instskip(NEXT) | instid1(VALU_DEP_1)
	v_pk_mul_f32 v[4:5], v[4:5], v[4:5]
	v_dual_add_nc_u32 v7, -1, v3 :: v_dual_add_f32 v9, v4, v5
	s_delay_alu instid0(VALU_DEP_1) | instskip(NEXT) | instid1(VALU_DEP_2)
	v_cvt_f32_u32_e32 v7, v7
	v_cmp_gt_f32_e32 vcc_lo, 0xf800000, v9
	s_delay_alu instid0(VALU_DEP_2) | instskip(SKIP_1) | instid1(SALU_CYCLE_1)
	v_pk_fma_f32 v[4:5], v[6:7], s[2:3], 0 op_sel_hi:[1,0,0]
	s_add_co_i32 s3, s3, -2
	s_cmp_lg_u32 s3, 0
	s_delay_alu instid0(VALU_DEP_1) | instskip(NEXT) | instid1(VALU_DEP_1)
	v_pk_mul_f32 v[4:5], v[4:5], v[4:5]
	v_add_f32_e32 v4, v4, v5
	s_delay_alu instid0(VALU_DEP_1) | instskip(NEXT) | instid1(VALU_DEP_1)
	v_dual_mul_f32 v6, 0x4f800000, v9 :: v_dual_mul_f32 v7, 0x4f800000, v4
	v_cndmask_b32_e32 v6, v9, v6, vcc_lo
	v_cmp_gt_f32_e64 s0, 0xf800000, v4
	s_delay_alu instid0(VALU_DEP_2) | instskip(SKIP_1) | instid1(TRANS32_DEP_1)
	v_sqrt_f32_e32 v5, v6
	v_nop
	v_dual_add_nc_u32 v9, -1, v5 :: v_dual_cndmask_b32 v4, v4, v7, s0
	s_delay_alu instid0(VALU_DEP_1) | instskip(NEXT) | instid1(VALU_DEP_2)
	v_dual_add_nc_u32 v7, 1, v5 :: v_dual_fma_f32 v23, -v9, v5, v6
	v_sqrt_f32_e32 v24, v4
	s_delay_alu instid0(VALU_DEP_1) | instskip(NEXT) | instid1(VALU_DEP_2)
	v_fma_f32 v25, -v7, v5, v6
	v_cmp_ge_f32_e64 s1, 0, v23
	s_delay_alu instid0(TRANS32_DEP_1) | instid1(VALU_DEP_1)
	v_dual_cndmask_b32 v5, v5, v9, s1 :: v_dual_add_nc_u32 v9, -1, v24
	s_delay_alu instid0(VALU_DEP_3) | instskip(NEXT) | instid1(VALU_DEP_2)
	v_cmp_lt_f32_e64 s1, 0, v25
	v_fma_f32 v23, -v9, v24, v4
	s_delay_alu instid0(VALU_DEP_2) | instskip(NEXT) | instid1(VALU_DEP_2)
	v_dual_cndmask_b32 v5, v5, v7, s1 :: v_dual_add_nc_u32 v7, 1, v24
	v_cmp_ge_f32_e64 s1, 0, v23
	s_delay_alu instid0(VALU_DEP_1) | instskip(NEXT) | instid1(VALU_DEP_1)
	v_dual_fma_f32 v26, -v7, v24, v4 :: v_dual_cndmask_b32 v9, v24, v9, s1
	v_cmp_lt_f32_e64 s1, 0, v26
	s_delay_alu instid0(VALU_DEP_1) | instskip(SKIP_1) | instid1(VALU_DEP_1)
	v_cndmask_b32_e64 v7, v9, v7, s1
	v_mul_f32_e32 v25, 0x37800000, v5
	v_cndmask_b32_e32 v5, v5, v25, vcc_lo
	v_cmp_class_f32_e64 vcc_lo, v6, 0x260
	s_delay_alu instid0(VALU_DEP_2) | instskip(NEXT) | instid1(VALU_DEP_1)
	v_cndmask_b32_e32 v5, v5, v6, vcc_lo
	v_cmp_nge_f32_e32 vcc_lo, 1.0, v5
	v_dual_cndmask_b32 v5, v8, v22 :: v_dual_mul_f32 v6, 0x37800000, v7
	v_cmp_class_f32_e64 vcc_lo, v4, 0x260
	s_delay_alu instid0(VALU_DEP_2) | instskip(NEXT) | instid1(VALU_DEP_1)
	v_dual_cndmask_b32 v6, v7, v6, s0 :: v_dual_add_f32 v7, 1.0, v5
	v_cndmask_b32_e32 v4, v6, v4, vcc_lo
	s_delay_alu instid0(VALU_DEP_1) | instskip(NEXT) | instid1(VALU_DEP_3)
	v_cmp_nge_f32_e32 vcc_lo, 1.0, v4
	v_cndmask_b32_e32 v22, v7, v5, vcc_lo
	s_cbranch_scc1 .LBB27_335
; %bb.336:
	v_dual_mov_b32 v3, 1 :: v_dual_add_nc_u32 v4, 0xafc800, v2
	s_mov_b32 s1, 0
	s_mov_b32 s12, exec_lo
	s_delay_alu instid0(VALU_DEP_1)
	v_cmpx_ne_u32_e32 0, v4
	s_cbranch_execz .LBB27_350
; %bb.337:
	v_mov_b32_e32 v5, 0
	v_mov_b64_e32 v[8:9], 1
	s_mov_b64 s[8:9], 0xbc8f
	s_mov_b64 s[2:3], 0xfffffffd
	;; [unrolled: 1-line block ×3, first 2 shown]
	v_mov_b64_e32 v[6:7], v[4:5]
	s_mov_b64 s[6:7], 0x80000001
	s_mov_b32 s13, 0
	s_branch .LBB27_339
.LBB27_338:                             ;   in Loop: Header=BB27_339 Depth=1
	s_or_b32 exec_lo, exec_lo, s0
	s_mul_u64 s[8:9], s[8:9], s[8:9]
	s_mov_b32 s15, s1
	s_and_b64 s[16:17], s[8:9], s[2:3]
	s_mov_b32 s0, s9
	s_mul_u64 s[20:21], s[16:17], 3
	s_mul_u64 s[22:23], s[0:1], 3
	s_mov_b32 s14, s21
	s_mul_u64 s[16:17], s[16:17], s[6:7]
	s_add_nc_u64 s[14:15], s[22:23], s[14:15]
	v_lshrrev_b64 v[24:25], 1, v[6:7]
	s_and_b64 s[22:23], s[14:15], s[4:5]
	s_mov_b32 s21, s1
	s_add_nc_u64 s[16:17], s[16:17], s[22:23]
	s_mov_b32 s25, s1
	s_mov_b32 s20, s15
	;; [unrolled: 1-line block ×3, first 2 shown]
	s_mul_u64 s[16:17], s[0:1], s[6:7]
	s_add_nc_u64 s[14:15], s[20:21], s[24:25]
	v_cmp_gt_u64_e32 vcc_lo, 2, v[6:7]
	s_add_nc_u64 s[14:15], s[16:17], s[14:15]
	v_mov_b64_e32 v[6:7], v[24:25]
	s_lshr_b64 s[14:15], s[14:15], 30
	s_delay_alu instid0(SALU_CYCLE_1)
	s_mul_u64 s[14:15], s[14:15], 0x7fffffff
	s_or_b32 s13, vcc_lo, s13
	s_sub_nc_u64 s[8:9], s[8:9], s[14:15]
	s_and_not1_b32 exec_lo, exec_lo, s13
	s_cbranch_execz .LBB27_349
.LBB27_339:                             ; =>This Inner Loop Header: Depth=1
	s_delay_alu instid0(VALU_DEP_1) | instskip(SKIP_1) | instid1(VALU_DEP_1)
	v_and_b32_e32 v3, 1, v6
	s_mov_b32 s0, exec_lo
	v_cmpx_eq_u32_e32 1, v3
	s_cbranch_execz .LBB27_338
; %bb.340:                              ;   in Loop: Header=BB27_339 Depth=1
	v_mul_u64_e32 v[8:9], s[8:9], v[8:9]
	s_delay_alu instid0(VALU_DEP_1) | instskip(NEXT) | instid1(VALU_DEP_1)
	v_mov_b32_e32 v4, v8
	v_mul_u64_e32 v[24:25], 5, v[4:5]
	s_delay_alu instid0(VALU_DEP_1) | instskip(NEXT) | instid1(VALU_DEP_1)
	v_mov_b32_e32 v4, v25
	v_mad_nc_u64_u32 v[24:25], v9, 5, v[4:5]
	s_delay_alu instid0(VALU_DEP_1) | instskip(NEXT) | instid1(VALU_DEP_1)
	v_dual_mov_b32 v4, v25 :: v_dual_mov_b32 v25, v5
	v_mad_nc_u64_u32 v[24:25], v8, 2, v[24:25]
	s_delay_alu instid0(VALU_DEP_1) | instskip(NEXT) | instid1(VALU_DEP_1)
	v_dual_mov_b32 v24, v25 :: v_dual_mov_b32 v25, v5
	v_add_nc_u64_e32 v[24:25], v[4:5], v[24:25]
	s_delay_alu instid0(VALU_DEP_1) | instskip(NEXT) | instid1(VALU_DEP_1)
	v_mad_nc_u64_u32 v[24:25], v9, 2, v[24:25]
	v_sub_nc_u64_e32 v[26:27], v[8:9], v[24:25]
	s_delay_alu instid0(VALU_DEP_1) | instskip(NEXT) | instid1(VALU_DEP_1)
	v_lshrrev_b64 v[26:27], 1, v[26:27]
	v_add_nc_u64_e32 v[24:25], v[26:27], v[24:25]
	s_delay_alu instid0(VALU_DEP_1) | instskip(NEXT) | instid1(VALU_DEP_1)
	v_lshrrev_b64 v[24:25], 30, v[24:25]
	v_mul_u64_e32 v[24:25], 0x7fffffff, v[24:25]
	s_delay_alu instid0(VALU_DEP_1)
	v_sub_nc_u64_e32 v[8:9], v[8:9], v[24:25]
	s_branch .LBB27_338
.LBB27_341:
	s_or_b32 exec_lo, exec_lo, s13
	v_add_min_u32_e64 v1, 0x80000001, v6, v6
	s_delay_alu instid0(VALU_DEP_1)
	v_add_min_u32_e64 v1, 0x80000001, v1, v1
.LBB27_342:
	s_or_b32 exec_lo, exec_lo, s12
	v_mov_b32_e32 v16, 0
	s_movk_i32 s3, 0x1388
	s_brev_b32 s2, 12
.LBB27_343:                             ; =>This Inner Loop Header: Depth=1
	v_mul_hi_u32 v2, 0xbc8f1391, v1
	s_delay_alu instid0(VALU_DEP_1) | instskip(NEXT) | instid1(VALU_DEP_1)
	v_lshrrev_b32_e32 v2, 15, v2
	v_mul_u32_u24_e32 v3, 0xadc8, v2
	s_delay_alu instid0(VALU_DEP_1) | instskip(SKIP_1) | instid1(VALU_DEP_2)
	v_sub_nc_u32_e32 v1, v1, v3
	v_mul_u32_u24_e32 v2, 0xd47, v2
	v_mul_lo_u32 v1, 0xbc8f, v1
	s_delay_alu instid0(VALU_DEP_2) | instskip(SKIP_1) | instid1(VALU_DEP_3)
	v_xor_b32_e32 v3, 0x7fffffff, v2
	v_sub_nc_u32_e32 v4, 0, v2
	v_cmp_lt_u32_e32 vcc_lo, v1, v2
	s_delay_alu instid0(VALU_DEP_2) | instskip(NEXT) | instid1(VALU_DEP_1)
	v_cndmask_b32_e32 v2, v4, v3, vcc_lo
	v_add_nc_u32_e32 v1, v2, v1
	s_delay_alu instid0(VALU_DEP_1) | instskip(NEXT) | instid1(VALU_DEP_1)
	v_mul_hi_u32 v2, 0xbc8f1391, v1
	v_lshrrev_b32_e32 v2, 15, v2
	s_delay_alu instid0(VALU_DEP_1) | instskip(SKIP_1) | instid1(VALU_DEP_2)
	v_mul_u32_u24_e32 v3, 0xadc8, v2
	v_mul_u32_u24_e32 v2, 0xd47, v2
	v_sub_nc_u32_e32 v3, v1, v3
	s_delay_alu instid0(VALU_DEP_2) | instskip(SKIP_1) | instid1(VALU_DEP_3)
	v_xor_b32_e32 v4, 0x7fffffff, v2
	v_add_nc_u32_e32 v1, -1, v1
	v_mul_lo_u32 v3, 0xbc8f, v3
	v_sub_nc_u32_e32 v5, 0, v2
	s_delay_alu instid0(VALU_DEP_2) | instskip(NEXT) | instid1(VALU_DEP_2)
	v_cmp_lt_u32_e32 vcc_lo, v3, v2
	v_cndmask_b32_e32 v2, v5, v4, vcc_lo
	s_delay_alu instid0(VALU_DEP_1) | instskip(NEXT) | instid1(VALU_DEP_1)
	v_add_nc_u32_e32 v3, v2, v3
	v_mul_hi_u32 v2, 0xbc8f1391, v3
	s_delay_alu instid0(VALU_DEP_1) | instskip(NEXT) | instid1(VALU_DEP_1)
	v_lshrrev_b32_e32 v2, 15, v2
	v_mul_u32_u24_e32 v4, 0xadc8, v2
	v_mul_u32_u24_e32 v2, 0xd47, v2
	s_delay_alu instid0(VALU_DEP_2) | instskip(NEXT) | instid1(VALU_DEP_2)
	v_sub_nc_u32_e32 v4, v3, v4
	v_xor_b32_e32 v5, 0x7fffffff, v2
	s_delay_alu instid0(VALU_DEP_2) | instskip(SKIP_1) | instid1(VALU_DEP_2)
	v_mul_lo_u32 v4, 0xbc8f, v4
	v_sub_nc_u32_e32 v6, 0, v2
	v_cmp_lt_u32_e32 vcc_lo, v4, v2
	s_delay_alu instid0(VALU_DEP_2) | instskip(NEXT) | instid1(VALU_DEP_1)
	v_dual_cndmask_b32 v2, v6, v5, vcc_lo :: v_dual_add_f32 v6, 1.0, v16
	v_add_nc_u32_e32 v4, v2, v4
	s_delay_alu instid0(VALU_DEP_1) | instskip(NEXT) | instid1(VALU_DEP_1)
	v_mul_hi_u32 v2, 0xbc8f1391, v4
	v_lshrrev_b32_e32 v2, 15, v2
	s_delay_alu instid0(VALU_DEP_1) | instskip(SKIP_2) | instid1(VALU_DEP_3)
	v_mul_u32_u24_e32 v5, 0xadc8, v2
	v_mul_u32_u24_e32 v7, 0xd47, v2
	v_cvt_f32_u32_e32 v2, v1
	v_sub_nc_u32_e32 v5, v4, v5
	s_delay_alu instid0(VALU_DEP_3) | instskip(SKIP_1) | instid1(VALU_DEP_3)
	v_xor_b32_e32 v1, 0x7fffffff, v7
	v_dual_sub_nc_u32 v17, 0, v7 :: v_dual_add_nc_u32 v4, -1, v4
	v_mul_lo_u32 v5, 0xbc8f, v5
	s_delay_alu instid0(VALU_DEP_2) | instskip(NEXT) | instid1(VALU_DEP_2)
	v_cvt_f32_u32_e32 v4, v4
	v_cmp_lt_u32_e32 vcc_lo, v5, v7
	s_delay_alu instid0(VALU_DEP_4) | instskip(NEXT) | instid1(VALU_DEP_1)
	v_dual_add_nc_u32 v3, -1, v3 :: v_dual_cndmask_b32 v1, v17, v1, vcc_lo
	v_cvt_f32_u32_e32 v3, v3
	s_delay_alu instid0(VALU_DEP_2) | instskip(NEXT) | instid1(VALU_DEP_2)
	v_add_nc_u32_e32 v1, v1, v5
	v_pk_fma_f32 v[2:3], v[2:3], s[2:3], 0 op_sel_hi:[1,0,0]
	s_delay_alu instid0(VALU_DEP_1) | instskip(NEXT) | instid1(VALU_DEP_1)
	v_pk_mul_f32 v[2:3], v[2:3], v[2:3]
	v_dual_add_nc_u32 v5, -1, v1 :: v_dual_add_f32 v7, v2, v3
	s_delay_alu instid0(VALU_DEP_1) | instskip(NEXT) | instid1(VALU_DEP_2)
	v_cvt_f32_u32_e32 v5, v5
	v_cmp_gt_f32_e32 vcc_lo, 0xf800000, v7
	s_delay_alu instid0(VALU_DEP_2) | instskip(SKIP_1) | instid1(SALU_CYCLE_1)
	v_pk_fma_f32 v[2:3], v[4:5], s[2:3], 0 op_sel_hi:[1,0,0]
	s_add_co_i32 s3, s3, -2
	s_cmp_lg_u32 s3, 0
	s_delay_alu instid0(VALU_DEP_1) | instskip(NEXT) | instid1(VALU_DEP_1)
	v_pk_mul_f32 v[2:3], v[2:3], v[2:3]
	v_add_f32_e32 v2, v2, v3
	s_delay_alu instid0(VALU_DEP_1) | instskip(NEXT) | instid1(VALU_DEP_1)
	v_dual_mul_f32 v4, 0x4f800000, v7 :: v_dual_mul_f32 v5, 0x4f800000, v2
	v_cndmask_b32_e32 v4, v7, v4, vcc_lo
	v_cmp_gt_f32_e64 s0, 0xf800000, v2
	s_delay_alu instid0(VALU_DEP_2) | instskip(SKIP_1) | instid1(TRANS32_DEP_1)
	v_sqrt_f32_e32 v3, v4
	v_nop
	v_dual_add_nc_u32 v7, -1, v3 :: v_dual_cndmask_b32 v2, v2, v5, s0
	s_delay_alu instid0(VALU_DEP_1) | instskip(NEXT) | instid1(VALU_DEP_2)
	v_dual_add_nc_u32 v5, 1, v3 :: v_dual_fma_f32 v17, -v7, v3, v4
	v_sqrt_f32_e32 v18, v2
	s_delay_alu instid0(VALU_DEP_1) | instskip(NEXT) | instid1(VALU_DEP_2)
	v_fma_f32 v19, -v5, v3, v4
	v_cmp_ge_f32_e64 s1, 0, v17
	s_delay_alu instid0(TRANS32_DEP_1) | instid1(VALU_DEP_1)
	v_dual_cndmask_b32 v3, v3, v7, s1 :: v_dual_add_nc_u32 v7, -1, v18
	s_delay_alu instid0(VALU_DEP_3) | instskip(NEXT) | instid1(VALU_DEP_2)
	v_cmp_lt_f32_e64 s1, 0, v19
	v_fma_f32 v17, -v7, v18, v2
	s_delay_alu instid0(VALU_DEP_2) | instskip(NEXT) | instid1(VALU_DEP_2)
	v_dual_cndmask_b32 v3, v3, v5, s1 :: v_dual_add_nc_u32 v5, 1, v18
	v_cmp_ge_f32_e64 s1, 0, v17
	s_delay_alu instid0(VALU_DEP_1) | instskip(NEXT) | instid1(VALU_DEP_1)
	v_dual_fma_f32 v20, -v5, v18, v2 :: v_dual_cndmask_b32 v7, v18, v7, s1
	v_cmp_lt_f32_e64 s1, 0, v20
	s_delay_alu instid0(VALU_DEP_1) | instskip(SKIP_1) | instid1(VALU_DEP_1)
	v_cndmask_b32_e64 v5, v7, v5, s1
	v_mul_f32_e32 v19, 0x37800000, v3
	v_cndmask_b32_e32 v3, v3, v19, vcc_lo
	v_cmp_class_f32_e64 vcc_lo, v4, 0x260
	s_delay_alu instid0(VALU_DEP_2) | instskip(NEXT) | instid1(VALU_DEP_1)
	v_cndmask_b32_e32 v3, v3, v4, vcc_lo
	v_cmp_nge_f32_e32 vcc_lo, 1.0, v3
	v_dual_cndmask_b32 v3, v6, v16 :: v_dual_mul_f32 v4, 0x37800000, v5
	v_cmp_class_f32_e64 vcc_lo, v2, 0x260
	s_delay_alu instid0(VALU_DEP_2) | instskip(NEXT) | instid1(VALU_DEP_1)
	v_dual_cndmask_b32 v4, v5, v4, s0 :: v_dual_add_f32 v5, 1.0, v3
	v_cndmask_b32_e32 v2, v4, v2, vcc_lo
	s_delay_alu instid0(VALU_DEP_1) | instskip(NEXT) | instid1(VALU_DEP_3)
	v_cmp_nge_f32_e32 vcc_lo, 1.0, v2
	v_cndmask_b32_e32 v16, v5, v3, vcc_lo
	s_cbranch_scc1 .LBB27_343
; %bb.344:
	v_dual_mov_b32 v1, 1 :: v_dual_add_nc_u32 v2, 0xafc800, v0
	s_mov_b32 s1, 0
	s_mov_b32 s12, exec_lo
	s_delay_alu instid0(VALU_DEP_1)
	v_cmpx_ne_u32_e32 0, v2
	s_cbranch_execz .LBB27_358
; %bb.345:
	v_mov_b32_e32 v3, 0
	v_mov_b64_e32 v[6:7], 1
	s_mov_b64 s[8:9], 0xbc8f
	s_mov_b64 s[2:3], 0xfffffffd
	s_mov_b64 s[4:5], 0xffffffff
	v_mov_b64_e32 v[4:5], v[2:3]
	s_mov_b64 s[6:7], 0x80000001
	s_mov_b32 s13, 0
	s_branch .LBB27_347
.LBB27_346:                             ;   in Loop: Header=BB27_347 Depth=1
	s_or_b32 exec_lo, exec_lo, s0
	s_mul_u64 s[8:9], s[8:9], s[8:9]
	s_mov_b32 s15, s1
	s_and_b64 s[16:17], s[8:9], s[2:3]
	s_mov_b32 s0, s9
	s_mul_u64 s[18:19], s[16:17], 3
	s_mul_u64 s[20:21], s[0:1], 3
	s_mov_b32 s14, s19
	s_mul_u64 s[16:17], s[16:17], s[6:7]
	s_add_nc_u64 s[14:15], s[20:21], s[14:15]
	v_lshrrev_b64 v[18:19], 1, v[4:5]
	s_and_b64 s[20:21], s[14:15], s[4:5]
	s_mov_b32 s19, s1
	s_add_nc_u64 s[16:17], s[16:17], s[20:21]
	s_mov_b32 s23, s1
	s_mov_b32 s18, s15
	;; [unrolled: 1-line block ×3, first 2 shown]
	s_mul_u64 s[16:17], s[0:1], s[6:7]
	s_add_nc_u64 s[14:15], s[18:19], s[22:23]
	v_cmp_gt_u64_e32 vcc_lo, 2, v[4:5]
	s_add_nc_u64 s[14:15], s[16:17], s[14:15]
	v_mov_b64_e32 v[4:5], v[18:19]
	s_lshr_b64 s[14:15], s[14:15], 30
	s_delay_alu instid0(SALU_CYCLE_1)
	s_mul_u64 s[14:15], s[14:15], 0x7fffffff
	s_or_b32 s13, vcc_lo, s13
	s_sub_nc_u64 s[8:9], s[8:9], s[14:15]
	s_and_not1_b32 exec_lo, exec_lo, s13
	s_cbranch_execz .LBB27_357
.LBB27_347:                             ; =>This Inner Loop Header: Depth=1
	s_delay_alu instid0(VALU_DEP_1) | instskip(SKIP_1) | instid1(VALU_DEP_1)
	v_and_b32_e32 v1, 1, v4
	s_mov_b32 s0, exec_lo
	v_cmpx_eq_u32_e32 1, v1
	s_cbranch_execz .LBB27_346
; %bb.348:                              ;   in Loop: Header=BB27_347 Depth=1
	v_mul_u64_e32 v[6:7], s[8:9], v[6:7]
	s_delay_alu instid0(VALU_DEP_1) | instskip(NEXT) | instid1(VALU_DEP_1)
	v_mov_b32_e32 v2, v6
	v_mul_u64_e32 v[18:19], 5, v[2:3]
	s_delay_alu instid0(VALU_DEP_1) | instskip(NEXT) | instid1(VALU_DEP_1)
	v_mov_b32_e32 v2, v19
	v_mad_nc_u64_u32 v[18:19], v7, 5, v[2:3]
	s_delay_alu instid0(VALU_DEP_1) | instskip(NEXT) | instid1(VALU_DEP_1)
	v_dual_mov_b32 v2, v19 :: v_dual_mov_b32 v19, v3
	v_mad_nc_u64_u32 v[18:19], v6, 2, v[18:19]
	s_delay_alu instid0(VALU_DEP_1) | instskip(NEXT) | instid1(VALU_DEP_1)
	v_dual_mov_b32 v18, v19 :: v_dual_mov_b32 v19, v3
	v_add_nc_u64_e32 v[18:19], v[2:3], v[18:19]
	s_delay_alu instid0(VALU_DEP_1) | instskip(NEXT) | instid1(VALU_DEP_1)
	v_mad_nc_u64_u32 v[18:19], v7, 2, v[18:19]
	v_sub_nc_u64_e32 v[20:21], v[6:7], v[18:19]
	s_delay_alu instid0(VALU_DEP_1) | instskip(NEXT) | instid1(VALU_DEP_1)
	v_lshrrev_b64 v[20:21], 1, v[20:21]
	v_add_nc_u64_e32 v[18:19], v[20:21], v[18:19]
	s_delay_alu instid0(VALU_DEP_1) | instskip(NEXT) | instid1(VALU_DEP_1)
	v_lshrrev_b64 v[18:19], 30, v[18:19]
	v_mul_u64_e32 v[18:19], 0x7fffffff, v[18:19]
	s_delay_alu instid0(VALU_DEP_1)
	v_sub_nc_u64_e32 v[6:7], v[6:7], v[18:19]
	s_branch .LBB27_346
.LBB27_349:
	s_or_b32 exec_lo, exec_lo, s13
	v_add_min_u32_e64 v3, 0x80000001, v8, v8
	s_delay_alu instid0(VALU_DEP_1)
	v_add_min_u32_e64 v3, 0x80000001, v3, v3
.LBB27_350:
	s_or_b32 exec_lo, exec_lo, s12
	v_mov_b32_e32 v23, 0
	s_movk_i32 s3, 0x1388
	s_brev_b32 s2, 12
.LBB27_351:                             ; =>This Inner Loop Header: Depth=1
	v_mul_hi_u32 v4, 0xbc8f1391, v3
	s_delay_alu instid0(VALU_DEP_1) | instskip(NEXT) | instid1(VALU_DEP_1)
	v_lshrrev_b32_e32 v4, 15, v4
	v_mul_u32_u24_e32 v5, 0xadc8, v4
	s_delay_alu instid0(VALU_DEP_1) | instskip(SKIP_1) | instid1(VALU_DEP_2)
	v_sub_nc_u32_e32 v3, v3, v5
	v_mul_u32_u24_e32 v4, 0xd47, v4
	v_mul_lo_u32 v3, 0xbc8f, v3
	s_delay_alu instid0(VALU_DEP_2) | instskip(SKIP_1) | instid1(VALU_DEP_3)
	v_xor_b32_e32 v5, 0x7fffffff, v4
	v_sub_nc_u32_e32 v6, 0, v4
	v_cmp_lt_u32_e32 vcc_lo, v3, v4
	s_delay_alu instid0(VALU_DEP_2) | instskip(NEXT) | instid1(VALU_DEP_1)
	v_cndmask_b32_e32 v4, v6, v5, vcc_lo
	v_add_nc_u32_e32 v3, v4, v3
	s_delay_alu instid0(VALU_DEP_1) | instskip(NEXT) | instid1(VALU_DEP_1)
	v_mul_hi_u32 v4, 0xbc8f1391, v3
	v_lshrrev_b32_e32 v4, 15, v4
	s_delay_alu instid0(VALU_DEP_1) | instskip(SKIP_1) | instid1(VALU_DEP_2)
	v_mul_u32_u24_e32 v5, 0xadc8, v4
	v_mul_u32_u24_e32 v4, 0xd47, v4
	v_sub_nc_u32_e32 v5, v3, v5
	s_delay_alu instid0(VALU_DEP_2) | instskip(SKIP_1) | instid1(VALU_DEP_3)
	v_xor_b32_e32 v6, 0x7fffffff, v4
	v_add_nc_u32_e32 v3, -1, v3
	v_mul_lo_u32 v5, 0xbc8f, v5
	v_sub_nc_u32_e32 v7, 0, v4
	s_delay_alu instid0(VALU_DEP_2) | instskip(NEXT) | instid1(VALU_DEP_2)
	v_cmp_lt_u32_e32 vcc_lo, v5, v4
	v_cndmask_b32_e32 v4, v7, v6, vcc_lo
	s_delay_alu instid0(VALU_DEP_1) | instskip(NEXT) | instid1(VALU_DEP_1)
	v_add_nc_u32_e32 v5, v4, v5
	v_mul_hi_u32 v4, 0xbc8f1391, v5
	s_delay_alu instid0(VALU_DEP_1) | instskip(NEXT) | instid1(VALU_DEP_1)
	v_lshrrev_b32_e32 v4, 15, v4
	v_mul_u32_u24_e32 v6, 0xadc8, v4
	v_mul_u32_u24_e32 v4, 0xd47, v4
	s_delay_alu instid0(VALU_DEP_2) | instskip(NEXT) | instid1(VALU_DEP_2)
	v_sub_nc_u32_e32 v6, v5, v6
	v_xor_b32_e32 v7, 0x7fffffff, v4
	s_delay_alu instid0(VALU_DEP_2) | instskip(SKIP_1) | instid1(VALU_DEP_2)
	v_mul_lo_u32 v6, 0xbc8f, v6
	v_sub_nc_u32_e32 v8, 0, v4
	v_cmp_lt_u32_e32 vcc_lo, v6, v4
	s_delay_alu instid0(VALU_DEP_2) | instskip(NEXT) | instid1(VALU_DEP_1)
	v_cndmask_b32_e32 v4, v8, v7, vcc_lo
	v_dual_add_f32 v8, 1.0, v23 :: v_dual_add_nc_u32 v6, v4, v6
	s_delay_alu instid0(VALU_DEP_1) | instskip(NEXT) | instid1(VALU_DEP_1)
	v_mul_hi_u32 v4, 0xbc8f1391, v6
	v_lshrrev_b32_e32 v4, 15, v4
	s_delay_alu instid0(VALU_DEP_1) | instskip(SKIP_2) | instid1(VALU_DEP_3)
	v_mul_u32_u24_e32 v7, 0xadc8, v4
	v_mul_u32_u24_e32 v9, 0xd47, v4
	v_cvt_f32_u32_e32 v4, v3
	v_sub_nc_u32_e32 v7, v6, v7
	s_delay_alu instid0(VALU_DEP_3) | instskip(SKIP_1) | instid1(VALU_DEP_3)
	v_xor_b32_e32 v3, 0x7fffffff, v9
	v_dual_sub_nc_u32 v24, 0, v9 :: v_dual_add_nc_u32 v6, -1, v6
	v_mul_lo_u32 v7, 0xbc8f, v7
	s_delay_alu instid0(VALU_DEP_2) | instskip(NEXT) | instid1(VALU_DEP_2)
	v_cvt_f32_u32_e32 v6, v6
	v_cmp_lt_u32_e32 vcc_lo, v7, v9
	s_delay_alu instid0(VALU_DEP_4) | instskip(NEXT) | instid1(VALU_DEP_1)
	v_dual_add_nc_u32 v5, -1, v5 :: v_dual_cndmask_b32 v3, v24, v3, vcc_lo
	v_cvt_f32_u32_e32 v5, v5
	s_delay_alu instid0(VALU_DEP_2) | instskip(NEXT) | instid1(VALU_DEP_2)
	v_add_nc_u32_e32 v3, v3, v7
	v_pk_fma_f32 v[4:5], v[4:5], s[2:3], 0 op_sel_hi:[1,0,0]
	s_delay_alu instid0(VALU_DEP_1) | instskip(NEXT) | instid1(VALU_DEP_1)
	v_pk_mul_f32 v[4:5], v[4:5], v[4:5]
	v_dual_add_nc_u32 v7, -1, v3 :: v_dual_add_f32 v9, v4, v5
	s_delay_alu instid0(VALU_DEP_1) | instskip(NEXT) | instid1(VALU_DEP_2)
	v_cvt_f32_u32_e32 v7, v7
	v_cmp_gt_f32_e32 vcc_lo, 0xf800000, v9
	s_delay_alu instid0(VALU_DEP_2) | instskip(SKIP_1) | instid1(SALU_CYCLE_1)
	v_pk_fma_f32 v[4:5], v[6:7], s[2:3], 0 op_sel_hi:[1,0,0]
	s_add_co_i32 s3, s3, -2
	s_cmp_lg_u32 s3, 0
	s_delay_alu instid0(VALU_DEP_1) | instskip(NEXT) | instid1(VALU_DEP_1)
	v_pk_mul_f32 v[4:5], v[4:5], v[4:5]
	v_add_f32_e32 v4, v4, v5
	s_delay_alu instid0(VALU_DEP_1) | instskip(NEXT) | instid1(VALU_DEP_1)
	v_dual_mul_f32 v6, 0x4f800000, v9 :: v_dual_mul_f32 v7, 0x4f800000, v4
	v_cndmask_b32_e32 v6, v9, v6, vcc_lo
	v_cmp_gt_f32_e64 s0, 0xf800000, v4
	s_delay_alu instid0(VALU_DEP_2) | instskip(SKIP_1) | instid1(TRANS32_DEP_1)
	v_sqrt_f32_e32 v5, v6
	v_nop
	v_dual_add_nc_u32 v9, -1, v5 :: v_dual_cndmask_b32 v4, v4, v7, s0
	s_delay_alu instid0(VALU_DEP_1) | instskip(NEXT) | instid1(VALU_DEP_2)
	v_dual_add_nc_u32 v7, 1, v5 :: v_dual_fma_f32 v24, -v9, v5, v6
	v_sqrt_f32_e32 v25, v4
	s_delay_alu instid0(VALU_DEP_1) | instskip(NEXT) | instid1(VALU_DEP_2)
	v_fma_f32 v26, -v7, v5, v6
	v_cmp_ge_f32_e64 s1, 0, v24
	s_delay_alu instid0(VALU_DEP_1) | instskip(NEXT) | instid1(VALU_DEP_3)
	v_cndmask_b32_e64 v5, v5, v9, s1
	v_cmp_lt_f32_e64 s1, 0, v26
	s_delay_alu instid0(TRANS32_DEP_1) | instid1(VALU_DEP_1)
	v_dual_add_nc_u32 v9, -1, v25 :: v_dual_cndmask_b32 v5, v5, v7, s1
	s_delay_alu instid0(VALU_DEP_1) | instskip(NEXT) | instid1(VALU_DEP_2)
	v_dual_add_nc_u32 v7, 1, v25 :: v_dual_fma_f32 v24, -v9, v25, v4
	v_mul_f32_e32 v26, 0x37800000, v5
	s_delay_alu instid0(VALU_DEP_2) | instskip(NEXT) | instid1(VALU_DEP_3)
	v_fma_f32 v27, -v7, v25, v4
	v_cmp_ge_f32_e64 s1, 0, v24
	s_delay_alu instid0(VALU_DEP_3) | instskip(SKIP_1) | instid1(VALU_DEP_2)
	v_cndmask_b32_e32 v5, v5, v26, vcc_lo
	v_cmp_class_f32_e64 vcc_lo, v6, 0x260
	v_cndmask_b32_e32 v5, v5, v6, vcc_lo
	s_delay_alu instid0(VALU_DEP_1) | instskip(SKIP_4) | instid1(VALU_DEP_3)
	v_cmp_nge_f32_e32 vcc_lo, 1.0, v5
	v_cndmask_b32_e64 v9, v25, v9, s1
	v_cmp_lt_f32_e64 s1, 0, v27
	v_cndmask_b32_e32 v5, v8, v23, vcc_lo
	v_cmp_class_f32_e64 vcc_lo, v4, 0x260
	v_cndmask_b32_e64 v7, v9, v7, s1
	s_delay_alu instid0(VALU_DEP_1) | instskip(NEXT) | instid1(VALU_DEP_1)
	v_mul_f32_e32 v6, 0x37800000, v7
	v_dual_cndmask_b32 v6, v7, v6, s0 :: v_dual_add_f32 v7, 1.0, v5
	s_delay_alu instid0(VALU_DEP_1) | instskip(NEXT) | instid1(VALU_DEP_1)
	v_cndmask_b32_e32 v4, v6, v4, vcc_lo
	v_cmp_nge_f32_e32 vcc_lo, 1.0, v4
	s_delay_alu instid0(VALU_DEP_3)
	v_cndmask_b32_e32 v23, v7, v5, vcc_lo
	s_cbranch_scc1 .LBB27_351
; %bb.352:
	v_dual_mov_b32 v3, 1 :: v_dual_add_nc_u32 v4, 0xc35000, v2
	s_mov_b32 s1, 0
	s_mov_b32 s12, exec_lo
	s_delay_alu instid0(VALU_DEP_1)
	v_cmpx_ne_u32_e32 0, v4
	s_cbranch_execz .LBB27_366
; %bb.353:
	v_mov_b32_e32 v5, 0
	v_mov_b64_e32 v[8:9], 1
	s_mov_b64 s[8:9], 0xbc8f
	s_mov_b64 s[2:3], 0xfffffffd
	;; [unrolled: 1-line block ×3, first 2 shown]
	v_mov_b64_e32 v[6:7], v[4:5]
	s_mov_b64 s[6:7], 0x80000001
	s_mov_b32 s13, 0
	s_branch .LBB27_355
.LBB27_354:                             ;   in Loop: Header=BB27_355 Depth=1
	s_or_b32 exec_lo, exec_lo, s0
	s_mul_u64 s[8:9], s[8:9], s[8:9]
	s_mov_b32 s15, s1
	s_and_b64 s[16:17], s[8:9], s[2:3]
	s_mov_b32 s0, s9
	s_mul_u64 s[20:21], s[16:17], 3
	s_mul_u64 s[22:23], s[0:1], 3
	s_mov_b32 s14, s21
	s_mul_u64 s[16:17], s[16:17], s[6:7]
	s_add_nc_u64 s[14:15], s[22:23], s[14:15]
	v_lshrrev_b64 v[24:25], 1, v[6:7]
	s_and_b64 s[22:23], s[14:15], s[4:5]
	s_mov_b32 s21, s1
	s_add_nc_u64 s[16:17], s[16:17], s[22:23]
	s_mov_b32 s25, s1
	s_mov_b32 s20, s15
	;; [unrolled: 1-line block ×3, first 2 shown]
	s_mul_u64 s[16:17], s[0:1], s[6:7]
	s_add_nc_u64 s[14:15], s[20:21], s[24:25]
	v_cmp_gt_u64_e32 vcc_lo, 2, v[6:7]
	s_add_nc_u64 s[14:15], s[16:17], s[14:15]
	v_mov_b64_e32 v[6:7], v[24:25]
	s_lshr_b64 s[14:15], s[14:15], 30
	s_delay_alu instid0(SALU_CYCLE_1)
	s_mul_u64 s[14:15], s[14:15], 0x7fffffff
	s_or_b32 s13, vcc_lo, s13
	s_sub_nc_u64 s[8:9], s[8:9], s[14:15]
	s_and_not1_b32 exec_lo, exec_lo, s13
	s_cbranch_execz .LBB27_365
.LBB27_355:                             ; =>This Inner Loop Header: Depth=1
	s_delay_alu instid0(VALU_DEP_1) | instskip(SKIP_1) | instid1(VALU_DEP_1)
	v_and_b32_e32 v3, 1, v6
	s_mov_b32 s0, exec_lo
	v_cmpx_eq_u32_e32 1, v3
	s_cbranch_execz .LBB27_354
; %bb.356:                              ;   in Loop: Header=BB27_355 Depth=1
	v_mul_u64_e32 v[8:9], s[8:9], v[8:9]
	s_delay_alu instid0(VALU_DEP_1) | instskip(NEXT) | instid1(VALU_DEP_1)
	v_mov_b32_e32 v4, v8
	v_mul_u64_e32 v[24:25], 5, v[4:5]
	s_delay_alu instid0(VALU_DEP_1) | instskip(NEXT) | instid1(VALU_DEP_1)
	v_mov_b32_e32 v4, v25
	v_mad_nc_u64_u32 v[24:25], v9, 5, v[4:5]
	s_delay_alu instid0(VALU_DEP_1) | instskip(NEXT) | instid1(VALU_DEP_1)
	v_dual_mov_b32 v4, v25 :: v_dual_mov_b32 v25, v5
	v_mad_nc_u64_u32 v[24:25], v8, 2, v[24:25]
	s_delay_alu instid0(VALU_DEP_1) | instskip(NEXT) | instid1(VALU_DEP_1)
	v_dual_mov_b32 v24, v25 :: v_dual_mov_b32 v25, v5
	v_add_nc_u64_e32 v[24:25], v[4:5], v[24:25]
	s_delay_alu instid0(VALU_DEP_1) | instskip(NEXT) | instid1(VALU_DEP_1)
	v_mad_nc_u64_u32 v[24:25], v9, 2, v[24:25]
	v_sub_nc_u64_e32 v[26:27], v[8:9], v[24:25]
	s_delay_alu instid0(VALU_DEP_1) | instskip(NEXT) | instid1(VALU_DEP_1)
	v_lshrrev_b64 v[26:27], 1, v[26:27]
	v_add_nc_u64_e32 v[24:25], v[26:27], v[24:25]
	s_delay_alu instid0(VALU_DEP_1) | instskip(NEXT) | instid1(VALU_DEP_1)
	v_lshrrev_b64 v[24:25], 30, v[24:25]
	v_mul_u64_e32 v[24:25], 0x7fffffff, v[24:25]
	s_delay_alu instid0(VALU_DEP_1)
	v_sub_nc_u64_e32 v[8:9], v[8:9], v[24:25]
	s_branch .LBB27_354
.LBB27_357:
	s_or_b32 exec_lo, exec_lo, s13
	v_add_min_u32_e64 v1, 0x80000001, v6, v6
	s_delay_alu instid0(VALU_DEP_1)
	v_add_min_u32_e64 v1, 0x80000001, v1, v1
.LBB27_358:
	s_or_b32 exec_lo, exec_lo, s12
	v_mov_b32_e32 v17, 0
	s_movk_i32 s3, 0x1388
	s_brev_b32 s2, 12
.LBB27_359:                             ; =>This Inner Loop Header: Depth=1
	v_mul_hi_u32 v2, 0xbc8f1391, v1
	s_delay_alu instid0(VALU_DEP_1) | instskip(NEXT) | instid1(VALU_DEP_1)
	v_lshrrev_b32_e32 v2, 15, v2
	v_mul_u32_u24_e32 v3, 0xadc8, v2
	s_delay_alu instid0(VALU_DEP_1) | instskip(SKIP_1) | instid1(VALU_DEP_2)
	v_sub_nc_u32_e32 v1, v1, v3
	v_mul_u32_u24_e32 v2, 0xd47, v2
	v_mul_lo_u32 v1, 0xbc8f, v1
	s_delay_alu instid0(VALU_DEP_2) | instskip(SKIP_1) | instid1(VALU_DEP_3)
	v_xor_b32_e32 v3, 0x7fffffff, v2
	v_sub_nc_u32_e32 v4, 0, v2
	v_cmp_lt_u32_e32 vcc_lo, v1, v2
	s_delay_alu instid0(VALU_DEP_2) | instskip(NEXT) | instid1(VALU_DEP_1)
	v_cndmask_b32_e32 v2, v4, v3, vcc_lo
	v_add_nc_u32_e32 v1, v2, v1
	s_delay_alu instid0(VALU_DEP_1) | instskip(NEXT) | instid1(VALU_DEP_1)
	v_mul_hi_u32 v2, 0xbc8f1391, v1
	v_lshrrev_b32_e32 v2, 15, v2
	s_delay_alu instid0(VALU_DEP_1) | instskip(SKIP_1) | instid1(VALU_DEP_2)
	v_mul_u32_u24_e32 v3, 0xadc8, v2
	v_mul_u32_u24_e32 v2, 0xd47, v2
	v_sub_nc_u32_e32 v3, v1, v3
	s_delay_alu instid0(VALU_DEP_2) | instskip(SKIP_1) | instid1(VALU_DEP_3)
	v_xor_b32_e32 v4, 0x7fffffff, v2
	v_add_nc_u32_e32 v1, -1, v1
	v_mul_lo_u32 v3, 0xbc8f, v3
	v_sub_nc_u32_e32 v5, 0, v2
	s_delay_alu instid0(VALU_DEP_2) | instskip(NEXT) | instid1(VALU_DEP_2)
	v_cmp_lt_u32_e32 vcc_lo, v3, v2
	v_cndmask_b32_e32 v2, v5, v4, vcc_lo
	s_delay_alu instid0(VALU_DEP_1) | instskip(NEXT) | instid1(VALU_DEP_1)
	v_add_nc_u32_e32 v3, v2, v3
	v_mul_hi_u32 v2, 0xbc8f1391, v3
	s_delay_alu instid0(VALU_DEP_1) | instskip(NEXT) | instid1(VALU_DEP_1)
	v_lshrrev_b32_e32 v2, 15, v2
	v_mul_u32_u24_e32 v4, 0xadc8, v2
	v_mul_u32_u24_e32 v2, 0xd47, v2
	s_delay_alu instid0(VALU_DEP_2) | instskip(NEXT) | instid1(VALU_DEP_2)
	v_sub_nc_u32_e32 v4, v3, v4
	v_xor_b32_e32 v5, 0x7fffffff, v2
	s_delay_alu instid0(VALU_DEP_2) | instskip(SKIP_1) | instid1(VALU_DEP_2)
	v_mul_lo_u32 v4, 0xbc8f, v4
	v_sub_nc_u32_e32 v6, 0, v2
	v_cmp_lt_u32_e32 vcc_lo, v4, v2
	s_delay_alu instid0(VALU_DEP_2) | instskip(NEXT) | instid1(VALU_DEP_1)
	v_cndmask_b32_e32 v2, v6, v5, vcc_lo
	v_dual_add_f32 v6, 1.0, v17 :: v_dual_add_nc_u32 v4, v2, v4
	s_delay_alu instid0(VALU_DEP_1) | instskip(NEXT) | instid1(VALU_DEP_1)
	v_mul_hi_u32 v2, 0xbc8f1391, v4
	v_lshrrev_b32_e32 v2, 15, v2
	s_delay_alu instid0(VALU_DEP_1) | instskip(SKIP_2) | instid1(VALU_DEP_3)
	v_mul_u32_u24_e32 v5, 0xadc8, v2
	v_mul_u32_u24_e32 v7, 0xd47, v2
	v_cvt_f32_u32_e32 v2, v1
	v_sub_nc_u32_e32 v5, v4, v5
	s_delay_alu instid0(VALU_DEP_3) | instskip(SKIP_1) | instid1(VALU_DEP_3)
	v_xor_b32_e32 v1, 0x7fffffff, v7
	v_dual_sub_nc_u32 v18, 0, v7 :: v_dual_add_nc_u32 v4, -1, v4
	v_mul_lo_u32 v5, 0xbc8f, v5
	s_delay_alu instid0(VALU_DEP_2) | instskip(NEXT) | instid1(VALU_DEP_2)
	v_cvt_f32_u32_e32 v4, v4
	v_cmp_lt_u32_e32 vcc_lo, v5, v7
	s_delay_alu instid0(VALU_DEP_4) | instskip(NEXT) | instid1(VALU_DEP_1)
	v_dual_add_nc_u32 v3, -1, v3 :: v_dual_cndmask_b32 v1, v18, v1, vcc_lo
	v_cvt_f32_u32_e32 v3, v3
	s_delay_alu instid0(VALU_DEP_2) | instskip(NEXT) | instid1(VALU_DEP_2)
	v_add_nc_u32_e32 v1, v1, v5
	v_pk_fma_f32 v[2:3], v[2:3], s[2:3], 0 op_sel_hi:[1,0,0]
	s_delay_alu instid0(VALU_DEP_1) | instskip(NEXT) | instid1(VALU_DEP_1)
	v_pk_mul_f32 v[2:3], v[2:3], v[2:3]
	v_dual_add_nc_u32 v5, -1, v1 :: v_dual_add_f32 v7, v2, v3
	s_delay_alu instid0(VALU_DEP_1) | instskip(NEXT) | instid1(VALU_DEP_2)
	v_cvt_f32_u32_e32 v5, v5
	v_cmp_gt_f32_e32 vcc_lo, 0xf800000, v7
	s_delay_alu instid0(VALU_DEP_2) | instskip(SKIP_1) | instid1(SALU_CYCLE_1)
	v_pk_fma_f32 v[2:3], v[4:5], s[2:3], 0 op_sel_hi:[1,0,0]
	s_add_co_i32 s3, s3, -2
	s_cmp_lg_u32 s3, 0
	s_delay_alu instid0(VALU_DEP_1) | instskip(NEXT) | instid1(VALU_DEP_1)
	v_pk_mul_f32 v[2:3], v[2:3], v[2:3]
	v_add_f32_e32 v2, v2, v3
	s_delay_alu instid0(VALU_DEP_1) | instskip(NEXT) | instid1(VALU_DEP_1)
	v_dual_mul_f32 v4, 0x4f800000, v7 :: v_dual_mul_f32 v5, 0x4f800000, v2
	v_cndmask_b32_e32 v4, v7, v4, vcc_lo
	v_cmp_gt_f32_e64 s0, 0xf800000, v2
	s_delay_alu instid0(VALU_DEP_2) | instskip(SKIP_1) | instid1(TRANS32_DEP_1)
	v_sqrt_f32_e32 v3, v4
	v_nop
	v_dual_add_nc_u32 v7, -1, v3 :: v_dual_cndmask_b32 v2, v2, v5, s0
	s_delay_alu instid0(VALU_DEP_1) | instskip(NEXT) | instid1(VALU_DEP_2)
	v_dual_add_nc_u32 v5, 1, v3 :: v_dual_fma_f32 v18, -v7, v3, v4
	v_sqrt_f32_e32 v19, v2
	s_delay_alu instid0(VALU_DEP_1) | instskip(NEXT) | instid1(VALU_DEP_2)
	v_fma_f32 v20, -v5, v3, v4
	v_cmp_ge_f32_e64 s1, 0, v18
	s_delay_alu instid0(VALU_DEP_1) | instskip(NEXT) | instid1(VALU_DEP_3)
	v_cndmask_b32_e64 v3, v3, v7, s1
	v_cmp_lt_f32_e64 s1, 0, v20
	s_delay_alu instid0(TRANS32_DEP_1) | instid1(VALU_DEP_1)
	v_dual_add_nc_u32 v7, -1, v19 :: v_dual_cndmask_b32 v3, v3, v5, s1
	s_delay_alu instid0(VALU_DEP_1) | instskip(NEXT) | instid1(VALU_DEP_2)
	v_dual_add_nc_u32 v5, 1, v19 :: v_dual_fma_f32 v18, -v7, v19, v2
	v_mul_f32_e32 v20, 0x37800000, v3
	s_delay_alu instid0(VALU_DEP_2) | instskip(NEXT) | instid1(VALU_DEP_3)
	v_fma_f32 v21, -v5, v19, v2
	v_cmp_ge_f32_e64 s1, 0, v18
	s_delay_alu instid0(VALU_DEP_3) | instskip(SKIP_1) | instid1(VALU_DEP_2)
	v_cndmask_b32_e32 v3, v3, v20, vcc_lo
	v_cmp_class_f32_e64 vcc_lo, v4, 0x260
	v_cndmask_b32_e32 v3, v3, v4, vcc_lo
	s_delay_alu instid0(VALU_DEP_1) | instskip(SKIP_4) | instid1(VALU_DEP_3)
	v_cmp_nge_f32_e32 vcc_lo, 1.0, v3
	v_cndmask_b32_e64 v7, v19, v7, s1
	v_cmp_lt_f32_e64 s1, 0, v21
	v_cndmask_b32_e32 v3, v6, v17, vcc_lo
	v_cmp_class_f32_e64 vcc_lo, v2, 0x260
	v_cndmask_b32_e64 v5, v7, v5, s1
	s_delay_alu instid0(VALU_DEP_1) | instskip(NEXT) | instid1(VALU_DEP_1)
	v_mul_f32_e32 v4, 0x37800000, v5
	v_dual_cndmask_b32 v4, v5, v4, s0 :: v_dual_add_f32 v5, 1.0, v3
	s_delay_alu instid0(VALU_DEP_1) | instskip(NEXT) | instid1(VALU_DEP_1)
	v_cndmask_b32_e32 v2, v4, v2, vcc_lo
	v_cmp_nge_f32_e32 vcc_lo, 1.0, v2
	s_delay_alu instid0(VALU_DEP_3)
	v_cndmask_b32_e32 v17, v5, v3, vcc_lo
	s_cbranch_scc1 .LBB27_359
; %bb.360:
	v_dual_mov_b32 v1, 1 :: v_dual_add_nc_u32 v2, 0xc35000, v0
	s_mov_b32 s1, 0
	s_mov_b32 s12, exec_lo
	s_delay_alu instid0(VALU_DEP_1)
	v_cmpx_ne_u32_e32 0, v2
	s_cbranch_execz .LBB27_374
; %bb.361:
	v_mov_b32_e32 v3, 0
	v_mov_b64_e32 v[6:7], 1
	s_mov_b64 s[8:9], 0xbc8f
	s_mov_b64 s[2:3], 0xfffffffd
	;; [unrolled: 1-line block ×3, first 2 shown]
	v_mov_b64_e32 v[4:5], v[2:3]
	s_mov_b64 s[6:7], 0x80000001
	s_mov_b32 s13, 0
	s_branch .LBB27_363
.LBB27_362:                             ;   in Loop: Header=BB27_363 Depth=1
	s_or_b32 exec_lo, exec_lo, s0
	s_mul_u64 s[8:9], s[8:9], s[8:9]
	s_mov_b32 s15, s1
	s_and_b64 s[16:17], s[8:9], s[2:3]
	s_mov_b32 s0, s9
	s_mul_u64 s[18:19], s[16:17], 3
	s_mul_u64 s[20:21], s[0:1], 3
	s_mov_b32 s14, s19
	s_mul_u64 s[16:17], s[16:17], s[6:7]
	s_add_nc_u64 s[14:15], s[20:21], s[14:15]
	v_lshrrev_b64 v[18:19], 1, v[4:5]
	s_and_b64 s[20:21], s[14:15], s[4:5]
	s_mov_b32 s19, s1
	s_add_nc_u64 s[16:17], s[16:17], s[20:21]
	s_mov_b32 s23, s1
	s_mov_b32 s18, s15
	;; [unrolled: 1-line block ×3, first 2 shown]
	s_mul_u64 s[16:17], s[0:1], s[6:7]
	s_add_nc_u64 s[14:15], s[18:19], s[22:23]
	v_cmp_gt_u64_e32 vcc_lo, 2, v[4:5]
	s_add_nc_u64 s[14:15], s[16:17], s[14:15]
	v_mov_b64_e32 v[4:5], v[18:19]
	s_lshr_b64 s[14:15], s[14:15], 30
	s_delay_alu instid0(SALU_CYCLE_1)
	s_mul_u64 s[14:15], s[14:15], 0x7fffffff
	s_or_b32 s13, vcc_lo, s13
	s_sub_nc_u64 s[8:9], s[8:9], s[14:15]
	s_and_not1_b32 exec_lo, exec_lo, s13
	s_cbranch_execz .LBB27_373
.LBB27_363:                             ; =>This Inner Loop Header: Depth=1
	s_delay_alu instid0(VALU_DEP_1) | instskip(SKIP_1) | instid1(VALU_DEP_1)
	v_and_b32_e32 v1, 1, v4
	s_mov_b32 s0, exec_lo
	v_cmpx_eq_u32_e32 1, v1
	s_cbranch_execz .LBB27_362
; %bb.364:                              ;   in Loop: Header=BB27_363 Depth=1
	v_mul_u64_e32 v[6:7], s[8:9], v[6:7]
	s_delay_alu instid0(VALU_DEP_1) | instskip(NEXT) | instid1(VALU_DEP_1)
	v_mov_b32_e32 v2, v6
	v_mul_u64_e32 v[18:19], 5, v[2:3]
	s_delay_alu instid0(VALU_DEP_1) | instskip(NEXT) | instid1(VALU_DEP_1)
	v_mov_b32_e32 v2, v19
	v_mad_nc_u64_u32 v[18:19], v7, 5, v[2:3]
	s_delay_alu instid0(VALU_DEP_1) | instskip(NEXT) | instid1(VALU_DEP_1)
	v_dual_mov_b32 v2, v19 :: v_dual_mov_b32 v19, v3
	v_mad_nc_u64_u32 v[18:19], v6, 2, v[18:19]
	s_delay_alu instid0(VALU_DEP_1) | instskip(NEXT) | instid1(VALU_DEP_1)
	v_dual_mov_b32 v18, v19 :: v_dual_mov_b32 v19, v3
	v_add_nc_u64_e32 v[18:19], v[2:3], v[18:19]
	s_delay_alu instid0(VALU_DEP_1) | instskip(NEXT) | instid1(VALU_DEP_1)
	v_mad_nc_u64_u32 v[18:19], v7, 2, v[18:19]
	v_sub_nc_u64_e32 v[20:21], v[6:7], v[18:19]
	s_delay_alu instid0(VALU_DEP_1) | instskip(NEXT) | instid1(VALU_DEP_1)
	v_lshrrev_b64 v[20:21], 1, v[20:21]
	v_add_nc_u64_e32 v[18:19], v[20:21], v[18:19]
	s_delay_alu instid0(VALU_DEP_1) | instskip(NEXT) | instid1(VALU_DEP_1)
	v_lshrrev_b64 v[18:19], 30, v[18:19]
	v_mul_u64_e32 v[18:19], 0x7fffffff, v[18:19]
	s_delay_alu instid0(VALU_DEP_1)
	v_sub_nc_u64_e32 v[6:7], v[6:7], v[18:19]
	s_branch .LBB27_362
.LBB27_365:
	s_or_b32 exec_lo, exec_lo, s13
	v_add_min_u32_e64 v3, 0x80000001, v8, v8
	s_delay_alu instid0(VALU_DEP_1)
	v_add_min_u32_e64 v3, 0x80000001, v3, v3
.LBB27_366:
	s_or_b32 exec_lo, exec_lo, s12
	v_mov_b32_e32 v24, 0
	s_movk_i32 s3, 0x1388
	s_brev_b32 s2, 12
.LBB27_367:                             ; =>This Inner Loop Header: Depth=1
	v_mul_hi_u32 v4, 0xbc8f1391, v3
	s_delay_alu instid0(VALU_DEP_1) | instskip(NEXT) | instid1(VALU_DEP_1)
	v_lshrrev_b32_e32 v4, 15, v4
	v_mul_u32_u24_e32 v5, 0xadc8, v4
	s_delay_alu instid0(VALU_DEP_1) | instskip(SKIP_1) | instid1(VALU_DEP_2)
	v_sub_nc_u32_e32 v3, v3, v5
	v_mul_u32_u24_e32 v4, 0xd47, v4
	v_mul_lo_u32 v3, 0xbc8f, v3
	s_delay_alu instid0(VALU_DEP_2) | instskip(SKIP_1) | instid1(VALU_DEP_3)
	v_xor_b32_e32 v5, 0x7fffffff, v4
	v_sub_nc_u32_e32 v6, 0, v4
	v_cmp_lt_u32_e32 vcc_lo, v3, v4
	s_delay_alu instid0(VALU_DEP_2) | instskip(NEXT) | instid1(VALU_DEP_1)
	v_cndmask_b32_e32 v4, v6, v5, vcc_lo
	v_add_nc_u32_e32 v3, v4, v3
	s_delay_alu instid0(VALU_DEP_1) | instskip(NEXT) | instid1(VALU_DEP_1)
	v_mul_hi_u32 v4, 0xbc8f1391, v3
	v_lshrrev_b32_e32 v4, 15, v4
	s_delay_alu instid0(VALU_DEP_1) | instskip(SKIP_1) | instid1(VALU_DEP_2)
	v_mul_u32_u24_e32 v5, 0xadc8, v4
	v_mul_u32_u24_e32 v4, 0xd47, v4
	v_sub_nc_u32_e32 v5, v3, v5
	s_delay_alu instid0(VALU_DEP_2) | instskip(SKIP_1) | instid1(VALU_DEP_3)
	v_xor_b32_e32 v6, 0x7fffffff, v4
	v_add_nc_u32_e32 v3, -1, v3
	v_mul_lo_u32 v5, 0xbc8f, v5
	v_sub_nc_u32_e32 v7, 0, v4
	s_delay_alu instid0(VALU_DEP_2) | instskip(NEXT) | instid1(VALU_DEP_2)
	v_cmp_lt_u32_e32 vcc_lo, v5, v4
	v_cndmask_b32_e32 v4, v7, v6, vcc_lo
	s_delay_alu instid0(VALU_DEP_1) | instskip(NEXT) | instid1(VALU_DEP_1)
	v_add_nc_u32_e32 v5, v4, v5
	v_mul_hi_u32 v4, 0xbc8f1391, v5
	s_delay_alu instid0(VALU_DEP_1) | instskip(NEXT) | instid1(VALU_DEP_1)
	v_lshrrev_b32_e32 v4, 15, v4
	v_mul_u32_u24_e32 v6, 0xadc8, v4
	v_mul_u32_u24_e32 v4, 0xd47, v4
	s_delay_alu instid0(VALU_DEP_2) | instskip(NEXT) | instid1(VALU_DEP_2)
	v_sub_nc_u32_e32 v6, v5, v6
	v_xor_b32_e32 v7, 0x7fffffff, v4
	s_delay_alu instid0(VALU_DEP_2) | instskip(SKIP_1) | instid1(VALU_DEP_2)
	v_mul_lo_u32 v6, 0xbc8f, v6
	v_sub_nc_u32_e32 v8, 0, v4
	v_cmp_lt_u32_e32 vcc_lo, v6, v4
	s_delay_alu instid0(VALU_DEP_2) | instskip(NEXT) | instid1(VALU_DEP_1)
	v_dual_cndmask_b32 v4, v8, v7, vcc_lo :: v_dual_add_f32 v8, 1.0, v24
	v_add_nc_u32_e32 v6, v4, v6
	s_delay_alu instid0(VALU_DEP_1) | instskip(NEXT) | instid1(VALU_DEP_1)
	v_mul_hi_u32 v4, 0xbc8f1391, v6
	v_lshrrev_b32_e32 v4, 15, v4
	s_delay_alu instid0(VALU_DEP_1) | instskip(SKIP_2) | instid1(VALU_DEP_3)
	v_mul_u32_u24_e32 v7, 0xadc8, v4
	v_mul_u32_u24_e32 v9, 0xd47, v4
	v_cvt_f32_u32_e32 v4, v3
	v_sub_nc_u32_e32 v7, v6, v7
	s_delay_alu instid0(VALU_DEP_3) | instskip(SKIP_1) | instid1(VALU_DEP_3)
	v_xor_b32_e32 v3, 0x7fffffff, v9
	v_dual_sub_nc_u32 v25, 0, v9 :: v_dual_add_nc_u32 v6, -1, v6
	v_mul_lo_u32 v7, 0xbc8f, v7
	s_delay_alu instid0(VALU_DEP_2) | instskip(NEXT) | instid1(VALU_DEP_2)
	v_cvt_f32_u32_e32 v6, v6
	v_cmp_lt_u32_e32 vcc_lo, v7, v9
	s_delay_alu instid0(VALU_DEP_4) | instskip(NEXT) | instid1(VALU_DEP_1)
	v_dual_add_nc_u32 v5, -1, v5 :: v_dual_cndmask_b32 v3, v25, v3, vcc_lo
	v_cvt_f32_u32_e32 v5, v5
	s_delay_alu instid0(VALU_DEP_2) | instskip(NEXT) | instid1(VALU_DEP_2)
	v_add_nc_u32_e32 v3, v3, v7
	v_pk_fma_f32 v[4:5], v[4:5], s[2:3], 0 op_sel_hi:[1,0,0]
	s_delay_alu instid0(VALU_DEP_1) | instskip(NEXT) | instid1(VALU_DEP_1)
	v_pk_mul_f32 v[4:5], v[4:5], v[4:5]
	v_dual_add_nc_u32 v7, -1, v3 :: v_dual_add_f32 v9, v4, v5
	s_delay_alu instid0(VALU_DEP_1) | instskip(NEXT) | instid1(VALU_DEP_2)
	v_cvt_f32_u32_e32 v7, v7
	v_cmp_gt_f32_e32 vcc_lo, 0xf800000, v9
	s_delay_alu instid0(VALU_DEP_2) | instskip(SKIP_1) | instid1(SALU_CYCLE_1)
	v_pk_fma_f32 v[4:5], v[6:7], s[2:3], 0 op_sel_hi:[1,0,0]
	s_add_co_i32 s3, s3, -2
	s_cmp_lg_u32 s3, 0
	s_delay_alu instid0(VALU_DEP_1) | instskip(NEXT) | instid1(VALU_DEP_1)
	v_pk_mul_f32 v[4:5], v[4:5], v[4:5]
	v_add_f32_e32 v4, v4, v5
	s_delay_alu instid0(VALU_DEP_1) | instskip(NEXT) | instid1(VALU_DEP_1)
	v_dual_mul_f32 v6, 0x4f800000, v9 :: v_dual_mul_f32 v7, 0x4f800000, v4
	v_cndmask_b32_e32 v6, v9, v6, vcc_lo
	v_cmp_gt_f32_e64 s0, 0xf800000, v4
	s_delay_alu instid0(VALU_DEP_2) | instskip(SKIP_1) | instid1(TRANS32_DEP_1)
	v_sqrt_f32_e32 v5, v6
	v_nop
	v_dual_add_nc_u32 v9, -1, v5 :: v_dual_cndmask_b32 v4, v4, v7, s0
	s_delay_alu instid0(VALU_DEP_1) | instskip(NEXT) | instid1(VALU_DEP_2)
	v_dual_add_nc_u32 v7, 1, v5 :: v_dual_fma_f32 v25, -v9, v5, v6
	v_sqrt_f32_e32 v26, v4
	s_delay_alu instid0(VALU_DEP_1) | instskip(NEXT) | instid1(VALU_DEP_2)
	v_fma_f32 v27, -v7, v5, v6
	v_cmp_ge_f32_e64 s1, 0, v25
	s_delay_alu instid0(TRANS32_DEP_1) | instid1(VALU_DEP_1)
	v_dual_cndmask_b32 v5, v5, v9, s1 :: v_dual_add_nc_u32 v9, -1, v26
	s_delay_alu instid0(VALU_DEP_3) | instskip(NEXT) | instid1(VALU_DEP_2)
	v_cmp_lt_f32_e64 s1, 0, v27
	v_fma_f32 v25, -v9, v26, v4
	s_delay_alu instid0(VALU_DEP_2) | instskip(NEXT) | instid1(VALU_DEP_2)
	v_dual_cndmask_b32 v5, v5, v7, s1 :: v_dual_add_nc_u32 v7, 1, v26
	v_cmp_ge_f32_e64 s1, 0, v25
	s_delay_alu instid0(VALU_DEP_1) | instskip(NEXT) | instid1(VALU_DEP_1)
	v_dual_fma_f32 v29, -v7, v26, v4 :: v_dual_cndmask_b32 v9, v26, v9, s1
	v_cmp_lt_f32_e64 s1, 0, v29
	s_delay_alu instid0(VALU_DEP_1) | instskip(SKIP_1) | instid1(VALU_DEP_1)
	v_cndmask_b32_e64 v7, v9, v7, s1
	v_mul_f32_e32 v27, 0x37800000, v5
	v_cndmask_b32_e32 v5, v5, v27, vcc_lo
	v_cmp_class_f32_e64 vcc_lo, v6, 0x260
	s_delay_alu instid0(VALU_DEP_2) | instskip(NEXT) | instid1(VALU_DEP_1)
	v_cndmask_b32_e32 v5, v5, v6, vcc_lo
	v_cmp_nge_f32_e32 vcc_lo, 1.0, v5
	v_dual_cndmask_b32 v5, v8, v24 :: v_dual_mul_f32 v6, 0x37800000, v7
	v_cmp_class_f32_e64 vcc_lo, v4, 0x260
	s_delay_alu instid0(VALU_DEP_2) | instskip(NEXT) | instid1(VALU_DEP_1)
	v_dual_cndmask_b32 v6, v7, v6, s0 :: v_dual_add_f32 v7, 1.0, v5
	v_cndmask_b32_e32 v4, v6, v4, vcc_lo
	s_delay_alu instid0(VALU_DEP_1) | instskip(NEXT) | instid1(VALU_DEP_3)
	v_cmp_nge_f32_e32 vcc_lo, 1.0, v4
	v_cndmask_b32_e32 v24, v7, v5, vcc_lo
	s_cbranch_scc1 .LBB27_367
; %bb.368:
	v_dual_mov_b32 v3, 1 :: v_dual_add_nc_u32 v4, 0xd6d800, v2
	s_mov_b32 s1, 0
	s_mov_b32 s12, exec_lo
	s_delay_alu instid0(VALU_DEP_1)
	v_cmpx_ne_u32_e32 0, v4
	s_cbranch_execz .LBB27_382
; %bb.369:
	v_mov_b32_e32 v5, 0
	v_mov_b64_e32 v[8:9], 1
	s_mov_b64 s[8:9], 0xbc8f
	s_mov_b64 s[2:3], 0xfffffffd
	;; [unrolled: 1-line block ×3, first 2 shown]
	v_mov_b64_e32 v[6:7], v[4:5]
	s_mov_b64 s[6:7], 0x80000001
	s_mov_b32 s13, 0
	s_branch .LBB27_371
.LBB27_370:                             ;   in Loop: Header=BB27_371 Depth=1
	s_or_b32 exec_lo, exec_lo, s0
	s_mul_u64 s[8:9], s[8:9], s[8:9]
	s_mov_b32 s15, s1
	s_and_b64 s[16:17], s[8:9], s[2:3]
	s_mov_b32 s0, s9
	s_mul_u64 s[20:21], s[16:17], 3
	s_mul_u64 s[22:23], s[0:1], 3
	s_mov_b32 s14, s21
	s_mul_u64 s[16:17], s[16:17], s[6:7]
	s_add_nc_u64 s[14:15], s[22:23], s[14:15]
	v_lshrrev_b64 v[26:27], 1, v[6:7]
	s_and_b64 s[22:23], s[14:15], s[4:5]
	s_mov_b32 s21, s1
	s_add_nc_u64 s[16:17], s[16:17], s[22:23]
	s_mov_b32 s25, s1
	s_mov_b32 s20, s15
	;; [unrolled: 1-line block ×3, first 2 shown]
	s_mul_u64 s[16:17], s[0:1], s[6:7]
	s_add_nc_u64 s[14:15], s[20:21], s[24:25]
	v_cmp_gt_u64_e32 vcc_lo, 2, v[6:7]
	s_add_nc_u64 s[14:15], s[16:17], s[14:15]
	v_mov_b64_e32 v[6:7], v[26:27]
	s_lshr_b64 s[14:15], s[14:15], 30
	s_delay_alu instid0(SALU_CYCLE_1)
	s_mul_u64 s[14:15], s[14:15], 0x7fffffff
	s_or_b32 s13, vcc_lo, s13
	s_sub_nc_u64 s[8:9], s[8:9], s[14:15]
	s_and_not1_b32 exec_lo, exec_lo, s13
	s_cbranch_execz .LBB27_381
.LBB27_371:                             ; =>This Inner Loop Header: Depth=1
	s_delay_alu instid0(VALU_DEP_1) | instskip(SKIP_1) | instid1(VALU_DEP_1)
	v_and_b32_e32 v3, 1, v6
	s_mov_b32 s0, exec_lo
	v_cmpx_eq_u32_e32 1, v3
	s_cbranch_execz .LBB27_370
; %bb.372:                              ;   in Loop: Header=BB27_371 Depth=1
	v_mul_u64_e32 v[8:9], s[8:9], v[8:9]
	s_delay_alu instid0(VALU_DEP_1) | instskip(NEXT) | instid1(VALU_DEP_1)
	v_mov_b32_e32 v4, v8
	v_mul_u64_e32 v[26:27], 5, v[4:5]
	s_delay_alu instid0(VALU_DEP_1) | instskip(NEXT) | instid1(VALU_DEP_1)
	v_mov_b32_e32 v4, v27
	v_mad_nc_u64_u32 v[26:27], v9, 5, v[4:5]
	s_delay_alu instid0(VALU_DEP_1) | instskip(NEXT) | instid1(VALU_DEP_1)
	v_dual_mov_b32 v4, v27 :: v_dual_mov_b32 v27, v5
	v_mad_nc_u64_u32 v[26:27], v8, 2, v[26:27]
	s_delay_alu instid0(VALU_DEP_1) | instskip(NEXT) | instid1(VALU_DEP_1)
	v_dual_mov_b32 v26, v27 :: v_dual_mov_b32 v27, v5
	v_add_nc_u64_e32 v[26:27], v[4:5], v[26:27]
	s_delay_alu instid0(VALU_DEP_1) | instskip(NEXT) | instid1(VALU_DEP_1)
	v_mad_nc_u64_u32 v[26:27], v9, 2, v[26:27]
	v_sub_nc_u64_e32 v[30:31], v[8:9], v[26:27]
	s_delay_alu instid0(VALU_DEP_1) | instskip(NEXT) | instid1(VALU_DEP_1)
	v_lshrrev_b64 v[30:31], 1, v[30:31]
	v_add_nc_u64_e32 v[26:27], v[30:31], v[26:27]
	s_delay_alu instid0(VALU_DEP_1) | instskip(NEXT) | instid1(VALU_DEP_1)
	v_lshrrev_b64 v[26:27], 30, v[26:27]
	v_mul_u64_e32 v[26:27], 0x7fffffff, v[26:27]
	s_delay_alu instid0(VALU_DEP_1)
	v_sub_nc_u64_e32 v[8:9], v[8:9], v[26:27]
	s_branch .LBB27_370
.LBB27_373:
	s_or_b32 exec_lo, exec_lo, s13
	v_add_min_u32_e64 v1, 0x80000001, v6, v6
	s_delay_alu instid0(VALU_DEP_1)
	v_add_min_u32_e64 v1, 0x80000001, v1, v1
.LBB27_374:
	s_or_b32 exec_lo, exec_lo, s12
	v_mov_b32_e32 v18, 0
	s_movk_i32 s3, 0x1388
	s_brev_b32 s2, 12
.LBB27_375:                             ; =>This Inner Loop Header: Depth=1
	v_mul_hi_u32 v2, 0xbc8f1391, v1
	s_delay_alu instid0(VALU_DEP_1) | instskip(NEXT) | instid1(VALU_DEP_1)
	v_lshrrev_b32_e32 v2, 15, v2
	v_mul_u32_u24_e32 v3, 0xadc8, v2
	s_delay_alu instid0(VALU_DEP_1) | instskip(SKIP_1) | instid1(VALU_DEP_2)
	v_sub_nc_u32_e32 v1, v1, v3
	v_mul_u32_u24_e32 v2, 0xd47, v2
	v_mul_lo_u32 v1, 0xbc8f, v1
	s_delay_alu instid0(VALU_DEP_2) | instskip(SKIP_1) | instid1(VALU_DEP_3)
	v_xor_b32_e32 v3, 0x7fffffff, v2
	v_sub_nc_u32_e32 v4, 0, v2
	v_cmp_lt_u32_e32 vcc_lo, v1, v2
	s_delay_alu instid0(VALU_DEP_2) | instskip(NEXT) | instid1(VALU_DEP_1)
	v_cndmask_b32_e32 v2, v4, v3, vcc_lo
	v_add_nc_u32_e32 v1, v2, v1
	s_delay_alu instid0(VALU_DEP_1) | instskip(NEXT) | instid1(VALU_DEP_1)
	v_mul_hi_u32 v2, 0xbc8f1391, v1
	v_lshrrev_b32_e32 v2, 15, v2
	s_delay_alu instid0(VALU_DEP_1) | instskip(SKIP_1) | instid1(VALU_DEP_2)
	v_mul_u32_u24_e32 v3, 0xadc8, v2
	v_mul_u32_u24_e32 v2, 0xd47, v2
	v_sub_nc_u32_e32 v3, v1, v3
	s_delay_alu instid0(VALU_DEP_2) | instskip(SKIP_1) | instid1(VALU_DEP_3)
	v_xor_b32_e32 v4, 0x7fffffff, v2
	v_add_nc_u32_e32 v1, -1, v1
	v_mul_lo_u32 v3, 0xbc8f, v3
	v_sub_nc_u32_e32 v5, 0, v2
	s_delay_alu instid0(VALU_DEP_2) | instskip(NEXT) | instid1(VALU_DEP_2)
	v_cmp_lt_u32_e32 vcc_lo, v3, v2
	v_cndmask_b32_e32 v2, v5, v4, vcc_lo
	s_delay_alu instid0(VALU_DEP_1) | instskip(NEXT) | instid1(VALU_DEP_1)
	v_add_nc_u32_e32 v3, v2, v3
	v_mul_hi_u32 v2, 0xbc8f1391, v3
	s_delay_alu instid0(VALU_DEP_1) | instskip(NEXT) | instid1(VALU_DEP_1)
	v_lshrrev_b32_e32 v2, 15, v2
	v_mul_u32_u24_e32 v4, 0xadc8, v2
	v_mul_u32_u24_e32 v2, 0xd47, v2
	s_delay_alu instid0(VALU_DEP_2) | instskip(NEXT) | instid1(VALU_DEP_2)
	v_sub_nc_u32_e32 v4, v3, v4
	v_xor_b32_e32 v5, 0x7fffffff, v2
	s_delay_alu instid0(VALU_DEP_2) | instskip(SKIP_1) | instid1(VALU_DEP_2)
	v_mul_lo_u32 v4, 0xbc8f, v4
	v_sub_nc_u32_e32 v6, 0, v2
	v_cmp_lt_u32_e32 vcc_lo, v4, v2
	s_delay_alu instid0(VALU_DEP_2) | instskip(NEXT) | instid1(VALU_DEP_1)
	v_dual_cndmask_b32 v2, v6, v5, vcc_lo :: v_dual_add_f32 v6, 1.0, v18
	v_add_nc_u32_e32 v4, v2, v4
	s_delay_alu instid0(VALU_DEP_1) | instskip(NEXT) | instid1(VALU_DEP_1)
	v_mul_hi_u32 v2, 0xbc8f1391, v4
	v_lshrrev_b32_e32 v2, 15, v2
	s_delay_alu instid0(VALU_DEP_1) | instskip(SKIP_2) | instid1(VALU_DEP_3)
	v_mul_u32_u24_e32 v5, 0xadc8, v2
	v_mul_u32_u24_e32 v7, 0xd47, v2
	v_cvt_f32_u32_e32 v2, v1
	v_sub_nc_u32_e32 v5, v4, v5
	s_delay_alu instid0(VALU_DEP_3) | instskip(SKIP_1) | instid1(VALU_DEP_3)
	v_xor_b32_e32 v1, 0x7fffffff, v7
	v_dual_sub_nc_u32 v19, 0, v7 :: v_dual_add_nc_u32 v4, -1, v4
	v_mul_lo_u32 v5, 0xbc8f, v5
	s_delay_alu instid0(VALU_DEP_2) | instskip(NEXT) | instid1(VALU_DEP_2)
	v_cvt_f32_u32_e32 v4, v4
	v_cmp_lt_u32_e32 vcc_lo, v5, v7
	s_delay_alu instid0(VALU_DEP_4) | instskip(NEXT) | instid1(VALU_DEP_1)
	v_dual_add_nc_u32 v3, -1, v3 :: v_dual_cndmask_b32 v1, v19, v1, vcc_lo
	v_cvt_f32_u32_e32 v3, v3
	s_delay_alu instid0(VALU_DEP_2) | instskip(NEXT) | instid1(VALU_DEP_2)
	v_add_nc_u32_e32 v1, v1, v5
	v_pk_fma_f32 v[2:3], v[2:3], s[2:3], 0 op_sel_hi:[1,0,0]
	s_delay_alu instid0(VALU_DEP_1) | instskip(NEXT) | instid1(VALU_DEP_1)
	v_pk_mul_f32 v[2:3], v[2:3], v[2:3]
	v_dual_add_nc_u32 v5, -1, v1 :: v_dual_add_f32 v7, v2, v3
	s_delay_alu instid0(VALU_DEP_1) | instskip(NEXT) | instid1(VALU_DEP_2)
	v_cvt_f32_u32_e32 v5, v5
	v_cmp_gt_f32_e32 vcc_lo, 0xf800000, v7
	s_delay_alu instid0(VALU_DEP_2) | instskip(SKIP_1) | instid1(SALU_CYCLE_1)
	v_pk_fma_f32 v[2:3], v[4:5], s[2:3], 0 op_sel_hi:[1,0,0]
	s_add_co_i32 s3, s3, -2
	s_cmp_lg_u32 s3, 0
	s_delay_alu instid0(VALU_DEP_1) | instskip(NEXT) | instid1(VALU_DEP_1)
	v_pk_mul_f32 v[2:3], v[2:3], v[2:3]
	v_add_f32_e32 v2, v2, v3
	s_delay_alu instid0(VALU_DEP_1) | instskip(NEXT) | instid1(VALU_DEP_1)
	v_dual_mul_f32 v4, 0x4f800000, v7 :: v_dual_mul_f32 v5, 0x4f800000, v2
	v_cndmask_b32_e32 v4, v7, v4, vcc_lo
	v_cmp_gt_f32_e64 s0, 0xf800000, v2
	s_delay_alu instid0(VALU_DEP_2) | instskip(SKIP_1) | instid1(TRANS32_DEP_1)
	v_sqrt_f32_e32 v3, v4
	v_nop
	v_dual_add_nc_u32 v7, -1, v3 :: v_dual_cndmask_b32 v2, v2, v5, s0
	s_delay_alu instid0(VALU_DEP_1) | instskip(NEXT) | instid1(VALU_DEP_2)
	v_dual_add_nc_u32 v5, 1, v3 :: v_dual_fma_f32 v19, -v7, v3, v4
	v_sqrt_f32_e32 v20, v2
	s_delay_alu instid0(VALU_DEP_1) | instskip(NEXT) | instid1(VALU_DEP_2)
	v_fma_f32 v21, -v5, v3, v4
	v_cmp_ge_f32_e64 s1, 0, v19
	s_delay_alu instid0(TRANS32_DEP_1) | instid1(VALU_DEP_1)
	v_dual_cndmask_b32 v3, v3, v7, s1 :: v_dual_add_nc_u32 v7, -1, v20
	s_delay_alu instid0(VALU_DEP_3) | instskip(NEXT) | instid1(VALU_DEP_2)
	v_cmp_lt_f32_e64 s1, 0, v21
	v_fma_f32 v19, -v7, v20, v2
	s_delay_alu instid0(VALU_DEP_2) | instskip(NEXT) | instid1(VALU_DEP_2)
	v_dual_cndmask_b32 v3, v3, v5, s1 :: v_dual_add_nc_u32 v5, 1, v20
	v_cmp_ge_f32_e64 s1, 0, v19
	s_delay_alu instid0(VALU_DEP_1) | instskip(NEXT) | instid1(VALU_DEP_1)
	v_dual_fma_f32 v22, -v5, v20, v2 :: v_dual_cndmask_b32 v7, v20, v7, s1
	v_cmp_lt_f32_e64 s1, 0, v22
	s_delay_alu instid0(VALU_DEP_1) | instskip(SKIP_1) | instid1(VALU_DEP_1)
	v_cndmask_b32_e64 v5, v7, v5, s1
	v_mul_f32_e32 v21, 0x37800000, v3
	v_cndmask_b32_e32 v3, v3, v21, vcc_lo
	v_cmp_class_f32_e64 vcc_lo, v4, 0x260
	s_delay_alu instid0(VALU_DEP_2) | instskip(NEXT) | instid1(VALU_DEP_1)
	v_cndmask_b32_e32 v3, v3, v4, vcc_lo
	v_cmp_nge_f32_e32 vcc_lo, 1.0, v3
	v_dual_cndmask_b32 v3, v6, v18 :: v_dual_mul_f32 v4, 0x37800000, v5
	v_cmp_class_f32_e64 vcc_lo, v2, 0x260
	s_delay_alu instid0(VALU_DEP_2) | instskip(NEXT) | instid1(VALU_DEP_1)
	v_dual_cndmask_b32 v4, v5, v4, s0 :: v_dual_add_f32 v5, 1.0, v3
	v_cndmask_b32_e32 v2, v4, v2, vcc_lo
	s_delay_alu instid0(VALU_DEP_1) | instskip(NEXT) | instid1(VALU_DEP_3)
	v_cmp_nge_f32_e32 vcc_lo, 1.0, v2
	v_cndmask_b32_e32 v18, v5, v3, vcc_lo
	s_cbranch_scc1 .LBB27_375
; %bb.376:
	v_dual_mov_b32 v1, 1 :: v_dual_add_nc_u32 v2, 0xd6d800, v0
	s_mov_b32 s1, 0
	s_mov_b32 s12, exec_lo
	s_delay_alu instid0(VALU_DEP_1)
	v_cmpx_ne_u32_e32 0, v2
	s_cbranch_execz .LBB27_390
; %bb.377:
	v_mov_b32_e32 v3, 0
	v_mov_b64_e32 v[6:7], 1
	s_mov_b64 s[8:9], 0xbc8f
	s_mov_b64 s[2:3], 0xfffffffd
	s_mov_b64 s[4:5], 0xffffffff
	v_mov_b64_e32 v[4:5], v[2:3]
	s_mov_b64 s[6:7], 0x80000001
	s_mov_b32 s13, 0
	s_branch .LBB27_379
.LBB27_378:                             ;   in Loop: Header=BB27_379 Depth=1
	s_or_b32 exec_lo, exec_lo, s0
	s_mul_u64 s[8:9], s[8:9], s[8:9]
	s_mov_b32 s15, s1
	s_and_b64 s[16:17], s[8:9], s[2:3]
	s_mov_b32 s0, s9
	s_mul_u64 s[18:19], s[16:17], 3
	s_mul_u64 s[20:21], s[0:1], 3
	s_mov_b32 s14, s19
	s_mul_u64 s[16:17], s[16:17], s[6:7]
	s_add_nc_u64 s[14:15], s[20:21], s[14:15]
	v_lshrrev_b64 v[20:21], 1, v[4:5]
	s_and_b64 s[20:21], s[14:15], s[4:5]
	s_mov_b32 s19, s1
	s_add_nc_u64 s[16:17], s[16:17], s[20:21]
	s_mov_b32 s23, s1
	s_mov_b32 s18, s15
	;; [unrolled: 1-line block ×3, first 2 shown]
	s_mul_u64 s[16:17], s[0:1], s[6:7]
	s_add_nc_u64 s[14:15], s[18:19], s[22:23]
	v_cmp_gt_u64_e32 vcc_lo, 2, v[4:5]
	s_add_nc_u64 s[14:15], s[16:17], s[14:15]
	v_mov_b64_e32 v[4:5], v[20:21]
	s_lshr_b64 s[14:15], s[14:15], 30
	s_delay_alu instid0(SALU_CYCLE_1)
	s_mul_u64 s[14:15], s[14:15], 0x7fffffff
	s_or_b32 s13, vcc_lo, s13
	s_sub_nc_u64 s[8:9], s[8:9], s[14:15]
	s_and_not1_b32 exec_lo, exec_lo, s13
	s_cbranch_execz .LBB27_389
.LBB27_379:                             ; =>This Inner Loop Header: Depth=1
	s_delay_alu instid0(VALU_DEP_1) | instskip(SKIP_1) | instid1(VALU_DEP_1)
	v_and_b32_e32 v1, 1, v4
	s_mov_b32 s0, exec_lo
	v_cmpx_eq_u32_e32 1, v1
	s_cbranch_execz .LBB27_378
; %bb.380:                              ;   in Loop: Header=BB27_379 Depth=1
	v_mul_u64_e32 v[6:7], s[8:9], v[6:7]
	s_delay_alu instid0(VALU_DEP_1) | instskip(NEXT) | instid1(VALU_DEP_1)
	v_mov_b32_e32 v2, v6
	v_mul_u64_e32 v[20:21], 5, v[2:3]
	s_delay_alu instid0(VALU_DEP_1) | instskip(NEXT) | instid1(VALU_DEP_1)
	v_mov_b32_e32 v2, v21
	v_mad_nc_u64_u32 v[20:21], v7, 5, v[2:3]
	s_delay_alu instid0(VALU_DEP_1) | instskip(NEXT) | instid1(VALU_DEP_1)
	v_dual_mov_b32 v2, v21 :: v_dual_mov_b32 v21, v3
	v_mad_nc_u64_u32 v[20:21], v6, 2, v[20:21]
	s_delay_alu instid0(VALU_DEP_1) | instskip(NEXT) | instid1(VALU_DEP_1)
	v_dual_mov_b32 v20, v21 :: v_dual_mov_b32 v21, v3
	v_add_nc_u64_e32 v[20:21], v[2:3], v[20:21]
	s_delay_alu instid0(VALU_DEP_1) | instskip(NEXT) | instid1(VALU_DEP_1)
	v_mad_nc_u64_u32 v[20:21], v7, 2, v[20:21]
	v_sub_nc_u64_e32 v[22:23], v[6:7], v[20:21]
	s_delay_alu instid0(VALU_DEP_1) | instskip(NEXT) | instid1(VALU_DEP_1)
	v_lshrrev_b64 v[22:23], 1, v[22:23]
	v_add_nc_u64_e32 v[20:21], v[22:23], v[20:21]
	s_delay_alu instid0(VALU_DEP_1) | instskip(NEXT) | instid1(VALU_DEP_1)
	v_lshrrev_b64 v[20:21], 30, v[20:21]
	v_mul_u64_e32 v[20:21], 0x7fffffff, v[20:21]
	s_delay_alu instid0(VALU_DEP_1)
	v_sub_nc_u64_e32 v[6:7], v[6:7], v[20:21]
	s_branch .LBB27_378
.LBB27_381:
	s_or_b32 exec_lo, exec_lo, s13
	v_add_min_u32_e64 v3, 0x80000001, v8, v8
	s_delay_alu instid0(VALU_DEP_1)
	v_add_min_u32_e64 v3, 0x80000001, v3, v3
.LBB27_382:
	s_or_b32 exec_lo, exec_lo, s12
	v_mov_b32_e32 v25, 0
	s_movk_i32 s3, 0x1388
	s_brev_b32 s2, 12
.LBB27_383:                             ; =>This Inner Loop Header: Depth=1
	v_mul_hi_u32 v4, 0xbc8f1391, v3
	s_delay_alu instid0(VALU_DEP_1) | instskip(NEXT) | instid1(VALU_DEP_1)
	v_lshrrev_b32_e32 v4, 15, v4
	v_mul_u32_u24_e32 v5, 0xadc8, v4
	s_delay_alu instid0(VALU_DEP_1) | instskip(SKIP_1) | instid1(VALU_DEP_2)
	v_sub_nc_u32_e32 v3, v3, v5
	v_mul_u32_u24_e32 v4, 0xd47, v4
	v_mul_lo_u32 v3, 0xbc8f, v3
	s_delay_alu instid0(VALU_DEP_2) | instskip(SKIP_1) | instid1(VALU_DEP_3)
	v_xor_b32_e32 v5, 0x7fffffff, v4
	v_sub_nc_u32_e32 v6, 0, v4
	v_cmp_lt_u32_e32 vcc_lo, v3, v4
	s_delay_alu instid0(VALU_DEP_2) | instskip(NEXT) | instid1(VALU_DEP_1)
	v_cndmask_b32_e32 v4, v6, v5, vcc_lo
	v_add_nc_u32_e32 v3, v4, v3
	s_delay_alu instid0(VALU_DEP_1) | instskip(NEXT) | instid1(VALU_DEP_1)
	v_mul_hi_u32 v4, 0xbc8f1391, v3
	v_lshrrev_b32_e32 v4, 15, v4
	s_delay_alu instid0(VALU_DEP_1) | instskip(SKIP_1) | instid1(VALU_DEP_2)
	v_mul_u32_u24_e32 v5, 0xadc8, v4
	v_mul_u32_u24_e32 v4, 0xd47, v4
	v_sub_nc_u32_e32 v5, v3, v5
	s_delay_alu instid0(VALU_DEP_2) | instskip(SKIP_1) | instid1(VALU_DEP_3)
	v_xor_b32_e32 v6, 0x7fffffff, v4
	v_add_nc_u32_e32 v3, -1, v3
	v_mul_lo_u32 v5, 0xbc8f, v5
	v_sub_nc_u32_e32 v7, 0, v4
	s_delay_alu instid0(VALU_DEP_2) | instskip(NEXT) | instid1(VALU_DEP_2)
	v_cmp_lt_u32_e32 vcc_lo, v5, v4
	v_cndmask_b32_e32 v4, v7, v6, vcc_lo
	s_delay_alu instid0(VALU_DEP_1) | instskip(NEXT) | instid1(VALU_DEP_1)
	v_add_nc_u32_e32 v5, v4, v5
	v_mul_hi_u32 v4, 0xbc8f1391, v5
	s_delay_alu instid0(VALU_DEP_1) | instskip(NEXT) | instid1(VALU_DEP_1)
	v_lshrrev_b32_e32 v4, 15, v4
	v_mul_u32_u24_e32 v6, 0xadc8, v4
	v_mul_u32_u24_e32 v4, 0xd47, v4
	s_delay_alu instid0(VALU_DEP_2) | instskip(NEXT) | instid1(VALU_DEP_2)
	v_sub_nc_u32_e32 v6, v5, v6
	v_xor_b32_e32 v7, 0x7fffffff, v4
	s_delay_alu instid0(VALU_DEP_2) | instskip(SKIP_1) | instid1(VALU_DEP_2)
	v_mul_lo_u32 v6, 0xbc8f, v6
	v_sub_nc_u32_e32 v8, 0, v4
	v_cmp_lt_u32_e32 vcc_lo, v6, v4
	s_delay_alu instid0(VALU_DEP_2) | instskip(NEXT) | instid1(VALU_DEP_1)
	v_dual_cndmask_b32 v4, v8, v7, vcc_lo :: v_dual_add_f32 v8, 1.0, v25
	v_add_nc_u32_e32 v6, v4, v6
	s_delay_alu instid0(VALU_DEP_1) | instskip(NEXT) | instid1(VALU_DEP_1)
	v_mul_hi_u32 v4, 0xbc8f1391, v6
	v_lshrrev_b32_e32 v4, 15, v4
	s_delay_alu instid0(VALU_DEP_1) | instskip(SKIP_2) | instid1(VALU_DEP_3)
	v_mul_u32_u24_e32 v7, 0xadc8, v4
	v_mul_u32_u24_e32 v9, 0xd47, v4
	v_cvt_f32_u32_e32 v4, v3
	v_sub_nc_u32_e32 v7, v6, v7
	s_delay_alu instid0(VALU_DEP_3) | instskip(SKIP_1) | instid1(VALU_DEP_3)
	v_xor_b32_e32 v3, 0x7fffffff, v9
	v_dual_sub_nc_u32 v26, 0, v9 :: v_dual_add_nc_u32 v6, -1, v6
	v_mul_lo_u32 v7, 0xbc8f, v7
	s_delay_alu instid0(VALU_DEP_2) | instskip(NEXT) | instid1(VALU_DEP_2)
	v_cvt_f32_u32_e32 v6, v6
	v_cmp_lt_u32_e32 vcc_lo, v7, v9
	s_delay_alu instid0(VALU_DEP_4) | instskip(NEXT) | instid1(VALU_DEP_1)
	v_dual_add_nc_u32 v5, -1, v5 :: v_dual_cndmask_b32 v3, v26, v3, vcc_lo
	v_cvt_f32_u32_e32 v5, v5
	s_delay_alu instid0(VALU_DEP_2) | instskip(NEXT) | instid1(VALU_DEP_2)
	v_add_nc_u32_e32 v3, v3, v7
	v_pk_fma_f32 v[4:5], v[4:5], s[2:3], 0 op_sel_hi:[1,0,0]
	s_delay_alu instid0(VALU_DEP_1) | instskip(NEXT) | instid1(VALU_DEP_1)
	v_pk_mul_f32 v[4:5], v[4:5], v[4:5]
	v_dual_add_nc_u32 v7, -1, v3 :: v_dual_add_f32 v9, v4, v5
	s_delay_alu instid0(VALU_DEP_1) | instskip(NEXT) | instid1(VALU_DEP_2)
	v_cvt_f32_u32_e32 v7, v7
	v_cmp_gt_f32_e32 vcc_lo, 0xf800000, v9
	s_delay_alu instid0(VALU_DEP_2) | instskip(SKIP_1) | instid1(SALU_CYCLE_1)
	v_pk_fma_f32 v[4:5], v[6:7], s[2:3], 0 op_sel_hi:[1,0,0]
	s_add_co_i32 s3, s3, -2
	s_cmp_lg_u32 s3, 0
	s_delay_alu instid0(VALU_DEP_1) | instskip(NEXT) | instid1(VALU_DEP_1)
	v_pk_mul_f32 v[4:5], v[4:5], v[4:5]
	v_add_f32_e32 v4, v4, v5
	s_delay_alu instid0(VALU_DEP_1) | instskip(NEXT) | instid1(VALU_DEP_1)
	v_dual_mul_f32 v6, 0x4f800000, v9 :: v_dual_mul_f32 v7, 0x4f800000, v4
	v_cndmask_b32_e32 v6, v9, v6, vcc_lo
	v_cmp_gt_f32_e64 s0, 0xf800000, v4
	s_delay_alu instid0(VALU_DEP_2) | instskip(SKIP_1) | instid1(TRANS32_DEP_1)
	v_sqrt_f32_e32 v5, v6
	v_nop
	v_dual_add_nc_u32 v9, -1, v5 :: v_dual_cndmask_b32 v4, v4, v7, s0
	s_delay_alu instid0(VALU_DEP_1) | instskip(NEXT) | instid1(VALU_DEP_2)
	v_dual_add_nc_u32 v7, 1, v5 :: v_dual_fma_f32 v26, -v9, v5, v6
	v_sqrt_f32_e32 v27, v4
	s_delay_alu instid0(VALU_DEP_1) | instskip(NEXT) | instid1(VALU_DEP_2)
	v_fma_f32 v29, -v7, v5, v6
	v_cmp_ge_f32_e64 s1, 0, v26
	s_delay_alu instid0(TRANS32_DEP_1) | instid1(VALU_DEP_1)
	v_dual_cndmask_b32 v5, v5, v9, s1 :: v_dual_add_nc_u32 v9, -1, v27
	s_delay_alu instid0(VALU_DEP_3) | instskip(NEXT) | instid1(VALU_DEP_1)
	v_cmp_lt_f32_e64 s1, 0, v29
	v_cndmask_b32_e64 v5, v5, v7, s1
	s_delay_alu instid0(VALU_DEP_3) | instskip(NEXT) | instid1(VALU_DEP_1)
	v_dual_add_nc_u32 v7, 1, v27 :: v_dual_fma_f32 v26, -v9, v27, v4
	v_fma_f32 v30, -v7, v27, v4
	s_delay_alu instid0(VALU_DEP_2) | instskip(NEXT) | instid1(VALU_DEP_1)
	v_cmp_ge_f32_e64 s1, 0, v26
	v_cndmask_b32_e64 v9, v27, v9, s1
	s_delay_alu instid0(VALU_DEP_3) | instskip(NEXT) | instid1(VALU_DEP_1)
	v_cmp_lt_f32_e64 s1, 0, v30
	v_cndmask_b32_e64 v7, v9, v7, s1
	v_mul_f32_e32 v29, 0x37800000, v5
	s_delay_alu instid0(VALU_DEP_1) | instskip(SKIP_1) | instid1(VALU_DEP_2)
	v_cndmask_b32_e32 v5, v5, v29, vcc_lo
	v_cmp_class_f32_e64 vcc_lo, v6, 0x260
	v_cndmask_b32_e32 v5, v5, v6, vcc_lo
	s_delay_alu instid0(VALU_DEP_1) | instskip(SKIP_2) | instid1(VALU_DEP_2)
	v_cmp_nge_f32_e32 vcc_lo, 1.0, v5
	v_dual_cndmask_b32 v5, v8, v25 :: v_dual_mul_f32 v6, 0x37800000, v7
	v_cmp_class_f32_e64 vcc_lo, v4, 0x260
	v_dual_cndmask_b32 v6, v7, v6, s0 :: v_dual_add_f32 v7, 1.0, v5
	s_delay_alu instid0(VALU_DEP_1) | instskip(NEXT) | instid1(VALU_DEP_1)
	v_cndmask_b32_e32 v4, v6, v4, vcc_lo
	v_cmp_nge_f32_e32 vcc_lo, 1.0, v4
	s_delay_alu instid0(VALU_DEP_3)
	v_cndmask_b32_e32 v25, v7, v5, vcc_lo
	s_cbranch_scc1 .LBB27_383
; %bb.384:
	v_dual_mov_b32 v3, 1 :: v_dual_add_nc_u32 v4, 0xea6000, v2
	s_mov_b32 s1, 0
	s_mov_b32 s12, exec_lo
	s_delay_alu instid0(VALU_DEP_1)
	v_cmpx_ne_u32_e32 0, v4
	s_cbranch_execz .LBB27_398
; %bb.385:
	v_mov_b32_e32 v5, 0
	v_mov_b64_e32 v[8:9], 1
	s_mov_b64 s[8:9], 0xbc8f
	s_mov_b64 s[2:3], 0xfffffffd
	;; [unrolled: 1-line block ×3, first 2 shown]
	v_mov_b64_e32 v[6:7], v[4:5]
	s_mov_b64 s[6:7], 0x80000001
	s_mov_b32 s13, 0
	s_branch .LBB27_387
.LBB27_386:                             ;   in Loop: Header=BB27_387 Depth=1
	s_or_b32 exec_lo, exec_lo, s0
	s_mul_u64 s[8:9], s[8:9], s[8:9]
	s_mov_b32 s15, s1
	s_and_b64 s[16:17], s[8:9], s[2:3]
	s_mov_b32 s0, s9
	s_mul_u64 s[20:21], s[16:17], 3
	s_mul_u64 s[22:23], s[0:1], 3
	s_mov_b32 s14, s21
	s_mul_u64 s[16:17], s[16:17], s[6:7]
	s_add_nc_u64 s[14:15], s[22:23], s[14:15]
	v_lshrrev_b64 v[26:27], 1, v[6:7]
	s_and_b64 s[22:23], s[14:15], s[4:5]
	s_mov_b32 s21, s1
	s_add_nc_u64 s[16:17], s[16:17], s[22:23]
	s_mov_b32 s25, s1
	s_mov_b32 s20, s15
	;; [unrolled: 1-line block ×3, first 2 shown]
	s_mul_u64 s[16:17], s[0:1], s[6:7]
	s_add_nc_u64 s[14:15], s[20:21], s[24:25]
	v_cmp_gt_u64_e32 vcc_lo, 2, v[6:7]
	s_add_nc_u64 s[14:15], s[16:17], s[14:15]
	v_mov_b64_e32 v[6:7], v[26:27]
	s_lshr_b64 s[14:15], s[14:15], 30
	s_delay_alu instid0(SALU_CYCLE_1)
	s_mul_u64 s[14:15], s[14:15], 0x7fffffff
	s_or_b32 s13, vcc_lo, s13
	s_sub_nc_u64 s[8:9], s[8:9], s[14:15]
	s_and_not1_b32 exec_lo, exec_lo, s13
	s_cbranch_execz .LBB27_397
.LBB27_387:                             ; =>This Inner Loop Header: Depth=1
	s_delay_alu instid0(VALU_DEP_1) | instskip(SKIP_1) | instid1(VALU_DEP_1)
	v_and_b32_e32 v3, 1, v6
	s_mov_b32 s0, exec_lo
	v_cmpx_eq_u32_e32 1, v3
	s_cbranch_execz .LBB27_386
; %bb.388:                              ;   in Loop: Header=BB27_387 Depth=1
	v_mul_u64_e32 v[8:9], s[8:9], v[8:9]
	s_delay_alu instid0(VALU_DEP_1) | instskip(NEXT) | instid1(VALU_DEP_1)
	v_mov_b32_e32 v4, v8
	v_mul_u64_e32 v[26:27], 5, v[4:5]
	s_delay_alu instid0(VALU_DEP_1) | instskip(NEXT) | instid1(VALU_DEP_1)
	v_mov_b32_e32 v4, v27
	v_mad_nc_u64_u32 v[26:27], v9, 5, v[4:5]
	s_delay_alu instid0(VALU_DEP_1) | instskip(NEXT) | instid1(VALU_DEP_1)
	v_dual_mov_b32 v4, v27 :: v_dual_mov_b32 v27, v5
	v_mad_nc_u64_u32 v[26:27], v8, 2, v[26:27]
	s_delay_alu instid0(VALU_DEP_1) | instskip(NEXT) | instid1(VALU_DEP_1)
	v_dual_mov_b32 v26, v27 :: v_dual_mov_b32 v27, v5
	v_add_nc_u64_e32 v[26:27], v[4:5], v[26:27]
	s_delay_alu instid0(VALU_DEP_1) | instskip(NEXT) | instid1(VALU_DEP_1)
	v_mad_nc_u64_u32 v[26:27], v9, 2, v[26:27]
	v_sub_nc_u64_e32 v[30:31], v[8:9], v[26:27]
	s_delay_alu instid0(VALU_DEP_1) | instskip(NEXT) | instid1(VALU_DEP_1)
	v_lshrrev_b64 v[30:31], 1, v[30:31]
	v_add_nc_u64_e32 v[26:27], v[30:31], v[26:27]
	s_delay_alu instid0(VALU_DEP_1) | instskip(NEXT) | instid1(VALU_DEP_1)
	v_lshrrev_b64 v[26:27], 30, v[26:27]
	v_mul_u64_e32 v[26:27], 0x7fffffff, v[26:27]
	s_delay_alu instid0(VALU_DEP_1)
	v_sub_nc_u64_e32 v[8:9], v[8:9], v[26:27]
	s_branch .LBB27_386
.LBB27_389:
	s_or_b32 exec_lo, exec_lo, s13
	v_add_min_u32_e64 v1, 0x80000001, v6, v6
	s_delay_alu instid0(VALU_DEP_1)
	v_add_min_u32_e64 v1, 0x80000001, v1, v1
.LBB27_390:
	s_or_b32 exec_lo, exec_lo, s12
	v_mov_b32_e32 v19, 0
	s_movk_i32 s3, 0x1388
	s_brev_b32 s2, 12
.LBB27_391:                             ; =>This Inner Loop Header: Depth=1
	v_mul_hi_u32 v2, 0xbc8f1391, v1
	s_delay_alu instid0(VALU_DEP_1) | instskip(NEXT) | instid1(VALU_DEP_1)
	v_lshrrev_b32_e32 v2, 15, v2
	v_mul_u32_u24_e32 v3, 0xadc8, v2
	s_delay_alu instid0(VALU_DEP_1) | instskip(SKIP_1) | instid1(VALU_DEP_2)
	v_sub_nc_u32_e32 v1, v1, v3
	v_mul_u32_u24_e32 v2, 0xd47, v2
	v_mul_lo_u32 v1, 0xbc8f, v1
	s_delay_alu instid0(VALU_DEP_2) | instskip(SKIP_1) | instid1(VALU_DEP_3)
	v_xor_b32_e32 v3, 0x7fffffff, v2
	v_sub_nc_u32_e32 v4, 0, v2
	v_cmp_lt_u32_e32 vcc_lo, v1, v2
	s_delay_alu instid0(VALU_DEP_2) | instskip(NEXT) | instid1(VALU_DEP_1)
	v_cndmask_b32_e32 v2, v4, v3, vcc_lo
	v_add_nc_u32_e32 v1, v2, v1
	s_delay_alu instid0(VALU_DEP_1) | instskip(NEXT) | instid1(VALU_DEP_1)
	v_mul_hi_u32 v2, 0xbc8f1391, v1
	v_lshrrev_b32_e32 v2, 15, v2
	s_delay_alu instid0(VALU_DEP_1) | instskip(SKIP_1) | instid1(VALU_DEP_2)
	v_mul_u32_u24_e32 v3, 0xadc8, v2
	v_mul_u32_u24_e32 v2, 0xd47, v2
	v_sub_nc_u32_e32 v3, v1, v3
	s_delay_alu instid0(VALU_DEP_2) | instskip(SKIP_1) | instid1(VALU_DEP_3)
	v_xor_b32_e32 v4, 0x7fffffff, v2
	v_add_nc_u32_e32 v1, -1, v1
	v_mul_lo_u32 v3, 0xbc8f, v3
	v_sub_nc_u32_e32 v5, 0, v2
	s_delay_alu instid0(VALU_DEP_2) | instskip(NEXT) | instid1(VALU_DEP_2)
	v_cmp_lt_u32_e32 vcc_lo, v3, v2
	v_cndmask_b32_e32 v2, v5, v4, vcc_lo
	s_delay_alu instid0(VALU_DEP_1) | instskip(NEXT) | instid1(VALU_DEP_1)
	v_add_nc_u32_e32 v3, v2, v3
	v_mul_hi_u32 v2, 0xbc8f1391, v3
	s_delay_alu instid0(VALU_DEP_1) | instskip(NEXT) | instid1(VALU_DEP_1)
	v_lshrrev_b32_e32 v2, 15, v2
	v_mul_u32_u24_e32 v4, 0xadc8, v2
	v_mul_u32_u24_e32 v2, 0xd47, v2
	s_delay_alu instid0(VALU_DEP_2) | instskip(NEXT) | instid1(VALU_DEP_2)
	v_sub_nc_u32_e32 v4, v3, v4
	v_xor_b32_e32 v5, 0x7fffffff, v2
	s_delay_alu instid0(VALU_DEP_2) | instskip(SKIP_1) | instid1(VALU_DEP_2)
	v_mul_lo_u32 v4, 0xbc8f, v4
	v_sub_nc_u32_e32 v6, 0, v2
	v_cmp_lt_u32_e32 vcc_lo, v4, v2
	s_delay_alu instid0(VALU_DEP_2) | instskip(NEXT) | instid1(VALU_DEP_1)
	v_dual_cndmask_b32 v2, v6, v5, vcc_lo :: v_dual_add_f32 v6, 1.0, v19
	v_add_nc_u32_e32 v4, v2, v4
	s_delay_alu instid0(VALU_DEP_1) | instskip(NEXT) | instid1(VALU_DEP_1)
	v_mul_hi_u32 v2, 0xbc8f1391, v4
	v_lshrrev_b32_e32 v2, 15, v2
	s_delay_alu instid0(VALU_DEP_1) | instskip(SKIP_2) | instid1(VALU_DEP_3)
	v_mul_u32_u24_e32 v5, 0xadc8, v2
	v_mul_u32_u24_e32 v7, 0xd47, v2
	v_cvt_f32_u32_e32 v2, v1
	v_sub_nc_u32_e32 v5, v4, v5
	s_delay_alu instid0(VALU_DEP_3) | instskip(SKIP_1) | instid1(VALU_DEP_3)
	v_xor_b32_e32 v1, 0x7fffffff, v7
	v_dual_sub_nc_u32 v20, 0, v7 :: v_dual_add_nc_u32 v4, -1, v4
	v_mul_lo_u32 v5, 0xbc8f, v5
	s_delay_alu instid0(VALU_DEP_2) | instskip(NEXT) | instid1(VALU_DEP_2)
	v_cvt_f32_u32_e32 v4, v4
	v_cmp_lt_u32_e32 vcc_lo, v5, v7
	s_delay_alu instid0(VALU_DEP_4) | instskip(NEXT) | instid1(VALU_DEP_1)
	v_dual_add_nc_u32 v3, -1, v3 :: v_dual_cndmask_b32 v1, v20, v1, vcc_lo
	v_cvt_f32_u32_e32 v3, v3
	s_delay_alu instid0(VALU_DEP_2) | instskip(NEXT) | instid1(VALU_DEP_2)
	v_add_nc_u32_e32 v1, v1, v5
	v_pk_fma_f32 v[2:3], v[2:3], s[2:3], 0 op_sel_hi:[1,0,0]
	s_delay_alu instid0(VALU_DEP_1) | instskip(NEXT) | instid1(VALU_DEP_1)
	v_pk_mul_f32 v[2:3], v[2:3], v[2:3]
	v_dual_add_nc_u32 v5, -1, v1 :: v_dual_add_f32 v7, v2, v3
	s_delay_alu instid0(VALU_DEP_1) | instskip(NEXT) | instid1(VALU_DEP_2)
	v_cvt_f32_u32_e32 v5, v5
	v_cmp_gt_f32_e32 vcc_lo, 0xf800000, v7
	s_delay_alu instid0(VALU_DEP_2) | instskip(SKIP_1) | instid1(SALU_CYCLE_1)
	v_pk_fma_f32 v[2:3], v[4:5], s[2:3], 0 op_sel_hi:[1,0,0]
	s_add_co_i32 s3, s3, -2
	s_cmp_lg_u32 s3, 0
	s_delay_alu instid0(VALU_DEP_1) | instskip(NEXT) | instid1(VALU_DEP_1)
	v_pk_mul_f32 v[2:3], v[2:3], v[2:3]
	v_add_f32_e32 v2, v2, v3
	s_delay_alu instid0(VALU_DEP_1) | instskip(NEXT) | instid1(VALU_DEP_1)
	v_dual_mul_f32 v4, 0x4f800000, v7 :: v_dual_mul_f32 v5, 0x4f800000, v2
	v_cndmask_b32_e32 v4, v7, v4, vcc_lo
	v_cmp_gt_f32_e64 s0, 0xf800000, v2
	s_delay_alu instid0(VALU_DEP_2) | instskip(SKIP_1) | instid1(TRANS32_DEP_1)
	v_sqrt_f32_e32 v3, v4
	v_nop
	v_dual_add_nc_u32 v7, -1, v3 :: v_dual_cndmask_b32 v2, v2, v5, s0
	s_delay_alu instid0(VALU_DEP_1) | instskip(NEXT) | instid1(VALU_DEP_2)
	v_dual_add_nc_u32 v5, 1, v3 :: v_dual_fma_f32 v20, -v7, v3, v4
	v_sqrt_f32_e32 v21, v2
	s_delay_alu instid0(VALU_DEP_1) | instskip(NEXT) | instid1(VALU_DEP_2)
	v_fma_f32 v22, -v5, v3, v4
	v_cmp_ge_f32_e64 s1, 0, v20
	s_delay_alu instid0(TRANS32_DEP_1) | instid1(VALU_DEP_1)
	v_dual_cndmask_b32 v3, v3, v7, s1 :: v_dual_add_nc_u32 v7, -1, v21
	s_delay_alu instid0(VALU_DEP_3) | instskip(NEXT) | instid1(VALU_DEP_1)
	v_cmp_lt_f32_e64 s1, 0, v22
	v_cndmask_b32_e64 v3, v3, v5, s1
	s_delay_alu instid0(VALU_DEP_3) | instskip(NEXT) | instid1(VALU_DEP_1)
	v_dual_add_nc_u32 v5, 1, v21 :: v_dual_fma_f32 v20, -v7, v21, v2
	v_fma_f32 v23, -v5, v21, v2
	s_delay_alu instid0(VALU_DEP_2) | instskip(NEXT) | instid1(VALU_DEP_1)
	v_cmp_ge_f32_e64 s1, 0, v20
	v_cndmask_b32_e64 v7, v21, v7, s1
	v_mul_f32_e32 v22, 0x37800000, v3
	s_delay_alu instid0(VALU_DEP_4) | instskip(NEXT) | instid1(VALU_DEP_1)
	v_cmp_lt_f32_e64 s1, 0, v23
	v_cndmask_b32_e64 v5, v7, v5, s1
	s_delay_alu instid0(VALU_DEP_3) | instskip(SKIP_1) | instid1(VALU_DEP_2)
	v_cndmask_b32_e32 v3, v3, v22, vcc_lo
	v_cmp_class_f32_e64 vcc_lo, v4, 0x260
	v_cndmask_b32_e32 v3, v3, v4, vcc_lo
	s_delay_alu instid0(VALU_DEP_1) | instskip(SKIP_2) | instid1(VALU_DEP_2)
	v_cmp_nge_f32_e32 vcc_lo, 1.0, v3
	v_dual_cndmask_b32 v3, v6, v19 :: v_dual_mul_f32 v4, 0x37800000, v5
	v_cmp_class_f32_e64 vcc_lo, v2, 0x260
	v_dual_cndmask_b32 v4, v5, v4, s0 :: v_dual_add_f32 v5, 1.0, v3
	s_delay_alu instid0(VALU_DEP_1) | instskip(NEXT) | instid1(VALU_DEP_1)
	v_cndmask_b32_e32 v2, v4, v2, vcc_lo
	v_cmp_nge_f32_e32 vcc_lo, 1.0, v2
	s_delay_alu instid0(VALU_DEP_3)
	v_cndmask_b32_e32 v19, v5, v3, vcc_lo
	s_cbranch_scc1 .LBB27_391
; %bb.392:
	v_dual_mov_b32 v1, 1 :: v_dual_add_nc_u32 v2, 0xea6000, v0
	s_mov_b32 s1, 0
	s_mov_b32 s12, exec_lo
	s_delay_alu instid0(VALU_DEP_1)
	v_cmpx_ne_u32_e32 0, v2
	s_cbranch_execz .LBB27_406
; %bb.393:
	v_mov_b32_e32 v3, 0
	v_mov_b64_e32 v[6:7], 1
	s_mov_b64 s[8:9], 0xbc8f
	s_mov_b64 s[2:3], 0xfffffffd
	;; [unrolled: 1-line block ×3, first 2 shown]
	v_mov_b64_e32 v[4:5], v[2:3]
	s_mov_b64 s[6:7], 0x80000001
	s_mov_b32 s13, 0
	s_branch .LBB27_395
.LBB27_394:                             ;   in Loop: Header=BB27_395 Depth=1
	s_or_b32 exec_lo, exec_lo, s0
	s_mul_u64 s[8:9], s[8:9], s[8:9]
	s_mov_b32 s15, s1
	s_and_b64 s[16:17], s[8:9], s[2:3]
	s_mov_b32 s0, s9
	s_mul_u64 s[18:19], s[16:17], 3
	s_mul_u64 s[20:21], s[0:1], 3
	s_mov_b32 s14, s19
	s_mul_u64 s[16:17], s[16:17], s[6:7]
	s_add_nc_u64 s[14:15], s[20:21], s[14:15]
	v_lshrrev_b64 v[20:21], 1, v[4:5]
	s_and_b64 s[20:21], s[14:15], s[4:5]
	s_mov_b32 s19, s1
	s_add_nc_u64 s[16:17], s[16:17], s[20:21]
	s_mov_b32 s23, s1
	s_mov_b32 s18, s15
	;; [unrolled: 1-line block ×3, first 2 shown]
	s_mul_u64 s[16:17], s[0:1], s[6:7]
	s_add_nc_u64 s[14:15], s[18:19], s[22:23]
	v_cmp_gt_u64_e32 vcc_lo, 2, v[4:5]
	s_add_nc_u64 s[14:15], s[16:17], s[14:15]
	v_mov_b64_e32 v[4:5], v[20:21]
	s_lshr_b64 s[14:15], s[14:15], 30
	s_delay_alu instid0(SALU_CYCLE_1)
	s_mul_u64 s[14:15], s[14:15], 0x7fffffff
	s_or_b32 s13, vcc_lo, s13
	s_sub_nc_u64 s[8:9], s[8:9], s[14:15]
	s_and_not1_b32 exec_lo, exec_lo, s13
	s_cbranch_execz .LBB27_405
.LBB27_395:                             ; =>This Inner Loop Header: Depth=1
	s_delay_alu instid0(VALU_DEP_1) | instskip(SKIP_1) | instid1(VALU_DEP_1)
	v_and_b32_e32 v1, 1, v4
	s_mov_b32 s0, exec_lo
	v_cmpx_eq_u32_e32 1, v1
	s_cbranch_execz .LBB27_394
; %bb.396:                              ;   in Loop: Header=BB27_395 Depth=1
	v_mul_u64_e32 v[6:7], s[8:9], v[6:7]
	s_delay_alu instid0(VALU_DEP_1) | instskip(NEXT) | instid1(VALU_DEP_1)
	v_mov_b32_e32 v2, v6
	v_mul_u64_e32 v[20:21], 5, v[2:3]
	s_delay_alu instid0(VALU_DEP_1) | instskip(NEXT) | instid1(VALU_DEP_1)
	v_mov_b32_e32 v2, v21
	v_mad_nc_u64_u32 v[20:21], v7, 5, v[2:3]
	s_delay_alu instid0(VALU_DEP_1) | instskip(NEXT) | instid1(VALU_DEP_1)
	v_dual_mov_b32 v2, v21 :: v_dual_mov_b32 v21, v3
	v_mad_nc_u64_u32 v[20:21], v6, 2, v[20:21]
	s_delay_alu instid0(VALU_DEP_1) | instskip(NEXT) | instid1(VALU_DEP_1)
	v_dual_mov_b32 v20, v21 :: v_dual_mov_b32 v21, v3
	v_add_nc_u64_e32 v[20:21], v[2:3], v[20:21]
	s_delay_alu instid0(VALU_DEP_1) | instskip(NEXT) | instid1(VALU_DEP_1)
	v_mad_nc_u64_u32 v[20:21], v7, 2, v[20:21]
	v_sub_nc_u64_e32 v[22:23], v[6:7], v[20:21]
	s_delay_alu instid0(VALU_DEP_1) | instskip(NEXT) | instid1(VALU_DEP_1)
	v_lshrrev_b64 v[22:23], 1, v[22:23]
	v_add_nc_u64_e32 v[20:21], v[22:23], v[20:21]
	s_delay_alu instid0(VALU_DEP_1) | instskip(NEXT) | instid1(VALU_DEP_1)
	v_lshrrev_b64 v[20:21], 30, v[20:21]
	v_mul_u64_e32 v[20:21], 0x7fffffff, v[20:21]
	s_delay_alu instid0(VALU_DEP_1)
	v_sub_nc_u64_e32 v[6:7], v[6:7], v[20:21]
	s_branch .LBB27_394
.LBB27_397:
	s_or_b32 exec_lo, exec_lo, s13
	v_add_min_u32_e64 v3, 0x80000001, v8, v8
	s_delay_alu instid0(VALU_DEP_1)
	v_add_min_u32_e64 v3, 0x80000001, v3, v3
.LBB27_398:
	s_or_b32 exec_lo, exec_lo, s12
	v_mov_b32_e32 v26, 0
	s_movk_i32 s3, 0x1388
	s_brev_b32 s2, 12
.LBB27_399:                             ; =>This Inner Loop Header: Depth=1
	v_mul_hi_u32 v4, 0xbc8f1391, v3
	s_delay_alu instid0(VALU_DEP_1) | instskip(NEXT) | instid1(VALU_DEP_1)
	v_lshrrev_b32_e32 v4, 15, v4
	v_mul_u32_u24_e32 v5, 0xadc8, v4
	s_delay_alu instid0(VALU_DEP_1) | instskip(SKIP_1) | instid1(VALU_DEP_2)
	v_sub_nc_u32_e32 v3, v3, v5
	v_mul_u32_u24_e32 v4, 0xd47, v4
	v_mul_lo_u32 v3, 0xbc8f, v3
	s_delay_alu instid0(VALU_DEP_2) | instskip(SKIP_1) | instid1(VALU_DEP_3)
	v_xor_b32_e32 v5, 0x7fffffff, v4
	v_sub_nc_u32_e32 v6, 0, v4
	v_cmp_lt_u32_e32 vcc_lo, v3, v4
	s_delay_alu instid0(VALU_DEP_2) | instskip(NEXT) | instid1(VALU_DEP_1)
	v_cndmask_b32_e32 v4, v6, v5, vcc_lo
	v_add_nc_u32_e32 v3, v4, v3
	s_delay_alu instid0(VALU_DEP_1) | instskip(NEXT) | instid1(VALU_DEP_1)
	v_mul_hi_u32 v4, 0xbc8f1391, v3
	v_lshrrev_b32_e32 v4, 15, v4
	s_delay_alu instid0(VALU_DEP_1) | instskip(SKIP_1) | instid1(VALU_DEP_2)
	v_mul_u32_u24_e32 v5, 0xadc8, v4
	v_mul_u32_u24_e32 v4, 0xd47, v4
	v_sub_nc_u32_e32 v5, v3, v5
	s_delay_alu instid0(VALU_DEP_2) | instskip(SKIP_1) | instid1(VALU_DEP_3)
	v_xor_b32_e32 v6, 0x7fffffff, v4
	v_add_nc_u32_e32 v3, -1, v3
	v_mul_lo_u32 v5, 0xbc8f, v5
	v_sub_nc_u32_e32 v7, 0, v4
	s_delay_alu instid0(VALU_DEP_2) | instskip(NEXT) | instid1(VALU_DEP_2)
	v_cmp_lt_u32_e32 vcc_lo, v5, v4
	v_cndmask_b32_e32 v4, v7, v6, vcc_lo
	s_delay_alu instid0(VALU_DEP_1) | instskip(NEXT) | instid1(VALU_DEP_1)
	v_add_nc_u32_e32 v5, v4, v5
	v_mul_hi_u32 v4, 0xbc8f1391, v5
	s_delay_alu instid0(VALU_DEP_1) | instskip(NEXT) | instid1(VALU_DEP_1)
	v_lshrrev_b32_e32 v4, 15, v4
	v_mul_u32_u24_e32 v6, 0xadc8, v4
	v_mul_u32_u24_e32 v4, 0xd47, v4
	s_delay_alu instid0(VALU_DEP_2) | instskip(NEXT) | instid1(VALU_DEP_2)
	v_sub_nc_u32_e32 v6, v5, v6
	v_xor_b32_e32 v7, 0x7fffffff, v4
	s_delay_alu instid0(VALU_DEP_2) | instskip(SKIP_1) | instid1(VALU_DEP_2)
	v_mul_lo_u32 v6, 0xbc8f, v6
	v_sub_nc_u32_e32 v8, 0, v4
	v_cmp_lt_u32_e32 vcc_lo, v6, v4
	s_delay_alu instid0(VALU_DEP_2) | instskip(NEXT) | instid1(VALU_DEP_1)
	v_dual_cndmask_b32 v4, v8, v7, vcc_lo :: v_dual_add_f32 v8, 1.0, v26
	v_add_nc_u32_e32 v6, v4, v6
	s_delay_alu instid0(VALU_DEP_1) | instskip(NEXT) | instid1(VALU_DEP_1)
	v_mul_hi_u32 v4, 0xbc8f1391, v6
	v_lshrrev_b32_e32 v4, 15, v4
	s_delay_alu instid0(VALU_DEP_1) | instskip(SKIP_2) | instid1(VALU_DEP_3)
	v_mul_u32_u24_e32 v7, 0xadc8, v4
	v_mul_u32_u24_e32 v9, 0xd47, v4
	v_cvt_f32_u32_e32 v4, v3
	v_sub_nc_u32_e32 v7, v6, v7
	s_delay_alu instid0(VALU_DEP_3) | instskip(SKIP_1) | instid1(VALU_DEP_3)
	v_xor_b32_e32 v3, 0x7fffffff, v9
	v_dual_sub_nc_u32 v27, 0, v9 :: v_dual_add_nc_u32 v6, -1, v6
	v_mul_lo_u32 v7, 0xbc8f, v7
	s_delay_alu instid0(VALU_DEP_2) | instskip(NEXT) | instid1(VALU_DEP_2)
	v_cvt_f32_u32_e32 v6, v6
	v_cmp_lt_u32_e32 vcc_lo, v7, v9
	s_delay_alu instid0(VALU_DEP_4) | instskip(NEXT) | instid1(VALU_DEP_1)
	v_dual_add_nc_u32 v5, -1, v5 :: v_dual_cndmask_b32 v3, v27, v3, vcc_lo
	v_cvt_f32_u32_e32 v5, v5
	s_delay_alu instid0(VALU_DEP_2) | instskip(NEXT) | instid1(VALU_DEP_2)
	v_add_nc_u32_e32 v3, v3, v7
	v_pk_fma_f32 v[4:5], v[4:5], s[2:3], 0 op_sel_hi:[1,0,0]
	s_delay_alu instid0(VALU_DEP_1) | instskip(NEXT) | instid1(VALU_DEP_1)
	v_pk_mul_f32 v[4:5], v[4:5], v[4:5]
	v_dual_add_nc_u32 v7, -1, v3 :: v_dual_add_f32 v9, v4, v5
	s_delay_alu instid0(VALU_DEP_1) | instskip(NEXT) | instid1(VALU_DEP_2)
	v_cvt_f32_u32_e32 v7, v7
	v_cmp_gt_f32_e32 vcc_lo, 0xf800000, v9
	s_delay_alu instid0(VALU_DEP_2) | instskip(SKIP_1) | instid1(SALU_CYCLE_1)
	v_pk_fma_f32 v[4:5], v[6:7], s[2:3], 0 op_sel_hi:[1,0,0]
	s_add_co_i32 s3, s3, -2
	s_cmp_lg_u32 s3, 0
	s_delay_alu instid0(VALU_DEP_1) | instskip(NEXT) | instid1(VALU_DEP_1)
	v_pk_mul_f32 v[4:5], v[4:5], v[4:5]
	v_add_f32_e32 v4, v4, v5
	s_delay_alu instid0(VALU_DEP_1) | instskip(NEXT) | instid1(VALU_DEP_1)
	v_dual_mul_f32 v6, 0x4f800000, v9 :: v_dual_mul_f32 v7, 0x4f800000, v4
	v_cndmask_b32_e32 v6, v9, v6, vcc_lo
	v_cmp_gt_f32_e64 s0, 0xf800000, v4
	s_delay_alu instid0(VALU_DEP_2) | instskip(SKIP_1) | instid1(TRANS32_DEP_1)
	v_sqrt_f32_e32 v5, v6
	v_nop
	v_dual_add_nc_u32 v9, -1, v5 :: v_dual_cndmask_b32 v4, v4, v7, s0
	s_delay_alu instid0(VALU_DEP_1) | instskip(NEXT) | instid1(VALU_DEP_2)
	v_dual_add_nc_u32 v7, 1, v5 :: v_dual_fma_f32 v27, -v9, v5, v6
	v_sqrt_f32_e32 v29, v4
	s_delay_alu instid0(VALU_DEP_1) | instskip(NEXT) | instid1(VALU_DEP_2)
	v_fma_f32 v30, -v7, v5, v6
	v_cmp_ge_f32_e64 s1, 0, v27
	s_delay_alu instid0(VALU_DEP_1) | instskip(NEXT) | instid1(VALU_DEP_3)
	v_cndmask_b32_e64 v5, v5, v9, s1
	v_cmp_lt_f32_e64 s1, 0, v30
	s_delay_alu instid0(TRANS32_DEP_1) | instid1(VALU_DEP_1)
	v_dual_add_nc_u32 v9, -1, v29 :: v_dual_cndmask_b32 v5, v5, v7, s1
	s_delay_alu instid0(VALU_DEP_1) | instskip(NEXT) | instid1(VALU_DEP_2)
	v_dual_add_nc_u32 v7, 1, v29 :: v_dual_fma_f32 v27, -v9, v29, v4
	v_mul_f32_e32 v30, 0x37800000, v5
	s_delay_alu instid0(VALU_DEP_2) | instskip(NEXT) | instid1(VALU_DEP_3)
	v_fma_f32 v31, -v7, v29, v4
	v_cmp_ge_f32_e64 s1, 0, v27
	s_delay_alu instid0(VALU_DEP_3) | instskip(SKIP_1) | instid1(VALU_DEP_2)
	v_cndmask_b32_e32 v5, v5, v30, vcc_lo
	v_cmp_class_f32_e64 vcc_lo, v6, 0x260
	v_cndmask_b32_e32 v5, v5, v6, vcc_lo
	s_delay_alu instid0(VALU_DEP_1) | instskip(SKIP_4) | instid1(VALU_DEP_3)
	v_cmp_nge_f32_e32 vcc_lo, 1.0, v5
	v_cndmask_b32_e64 v9, v29, v9, s1
	v_cmp_lt_f32_e64 s1, 0, v31
	v_cndmask_b32_e32 v5, v8, v26, vcc_lo
	v_cmp_class_f32_e64 vcc_lo, v4, 0x260
	v_cndmask_b32_e64 v7, v9, v7, s1
	s_delay_alu instid0(VALU_DEP_1) | instskip(NEXT) | instid1(VALU_DEP_1)
	v_mul_f32_e32 v6, 0x37800000, v7
	v_dual_cndmask_b32 v6, v7, v6, s0 :: v_dual_add_f32 v7, 1.0, v5
	s_delay_alu instid0(VALU_DEP_1) | instskip(NEXT) | instid1(VALU_DEP_1)
	v_cndmask_b32_e32 v4, v6, v4, vcc_lo
	v_cmp_nge_f32_e32 vcc_lo, 1.0, v4
	s_delay_alu instid0(VALU_DEP_3)
	v_cndmask_b32_e32 v26, v7, v5, vcc_lo
	s_cbranch_scc1 .LBB27_399
; %bb.400:
	v_dual_mov_b32 v3, 1 :: v_dual_add_nc_u32 v4, 0xfde800, v2
	s_mov_b32 s1, 0
	s_mov_b32 s12, exec_lo
	s_delay_alu instid0(VALU_DEP_1)
	v_cmpx_ne_u32_e32 0, v4
	s_cbranch_execz .LBB27_414
; %bb.401:
	v_mov_b32_e32 v5, 0
	v_mov_b64_e32 v[8:9], 1
	s_mov_b64 s[8:9], 0xbc8f
	s_mov_b64 s[2:3], 0xfffffffd
	;; [unrolled: 1-line block ×3, first 2 shown]
	v_mov_b64_e32 v[6:7], v[4:5]
	s_mov_b64 s[6:7], 0x80000001
	s_mov_b32 s13, 0
	s_branch .LBB27_403
.LBB27_402:                             ;   in Loop: Header=BB27_403 Depth=1
	s_or_b32 exec_lo, exec_lo, s0
	s_mul_u64 s[8:9], s[8:9], s[8:9]
	s_mov_b32 s15, s1
	s_and_b64 s[16:17], s[8:9], s[2:3]
	s_mov_b32 s0, s9
	s_mul_u64 s[20:21], s[16:17], 3
	s_mul_u64 s[22:23], s[0:1], 3
	s_mov_b32 s14, s21
	s_mul_u64 s[16:17], s[16:17], s[6:7]
	s_add_nc_u64 s[14:15], s[22:23], s[14:15]
	v_lshrrev_b64 v[30:31], 1, v[6:7]
	s_and_b64 s[22:23], s[14:15], s[4:5]
	s_mov_b32 s21, s1
	s_add_nc_u64 s[16:17], s[16:17], s[22:23]
	s_mov_b32 s25, s1
	s_mov_b32 s20, s15
	;; [unrolled: 1-line block ×3, first 2 shown]
	s_mul_u64 s[16:17], s[0:1], s[6:7]
	s_add_nc_u64 s[14:15], s[20:21], s[24:25]
	v_cmp_gt_u64_e32 vcc_lo, 2, v[6:7]
	s_add_nc_u64 s[14:15], s[16:17], s[14:15]
	v_mov_b64_e32 v[6:7], v[30:31]
	s_lshr_b64 s[14:15], s[14:15], 30
	s_delay_alu instid0(SALU_CYCLE_1)
	s_mul_u64 s[14:15], s[14:15], 0x7fffffff
	s_or_b32 s13, vcc_lo, s13
	s_sub_nc_u64 s[8:9], s[8:9], s[14:15]
	s_and_not1_b32 exec_lo, exec_lo, s13
	s_cbranch_execz .LBB27_413
.LBB27_403:                             ; =>This Inner Loop Header: Depth=1
	s_delay_alu instid0(VALU_DEP_1) | instskip(SKIP_1) | instid1(VALU_DEP_1)
	v_and_b32_e32 v3, 1, v6
	s_mov_b32 s0, exec_lo
	v_cmpx_eq_u32_e32 1, v3
	s_cbranch_execz .LBB27_402
; %bb.404:                              ;   in Loop: Header=BB27_403 Depth=1
	v_mul_u64_e32 v[8:9], s[8:9], v[8:9]
	s_delay_alu instid0(VALU_DEP_1) | instskip(NEXT) | instid1(VALU_DEP_1)
	v_mov_b32_e32 v4, v8
	v_mul_u64_e32 v[30:31], 5, v[4:5]
	s_delay_alu instid0(VALU_DEP_1) | instskip(NEXT) | instid1(VALU_DEP_1)
	v_mov_b32_e32 v4, v31
	v_mad_nc_u64_u32 v[30:31], v9, 5, v[4:5]
	s_delay_alu instid0(VALU_DEP_1) | instskip(NEXT) | instid1(VALU_DEP_1)
	v_dual_mov_b32 v4, v31 :: v_dual_mov_b32 v31, v5
	v_mad_nc_u64_u32 v[30:31], v8, 2, v[30:31]
	s_delay_alu instid0(VALU_DEP_1) | instskip(NEXT) | instid1(VALU_DEP_1)
	v_dual_mov_b32 v30, v31 :: v_dual_mov_b32 v31, v5
	v_add_nc_u64_e32 v[30:31], v[4:5], v[30:31]
	s_delay_alu instid0(VALU_DEP_1) | instskip(NEXT) | instid1(VALU_DEP_1)
	v_mad_nc_u64_u32 v[30:31], v9, 2, v[30:31]
	v_sub_nc_u64_e32 v[32:33], v[8:9], v[30:31]
	s_delay_alu instid0(VALU_DEP_1) | instskip(NEXT) | instid1(VALU_DEP_1)
	v_lshrrev_b64 v[32:33], 1, v[32:33]
	v_add_nc_u64_e32 v[30:31], v[32:33], v[30:31]
	s_delay_alu instid0(VALU_DEP_1) | instskip(NEXT) | instid1(VALU_DEP_1)
	v_lshrrev_b64 v[30:31], 30, v[30:31]
	v_mul_u64_e32 v[30:31], 0x7fffffff, v[30:31]
	s_delay_alu instid0(VALU_DEP_1)
	v_sub_nc_u64_e32 v[8:9], v[8:9], v[30:31]
	s_branch .LBB27_402
.LBB27_405:
	s_or_b32 exec_lo, exec_lo, s13
	v_add_min_u32_e64 v1, 0x80000001, v6, v6
	s_delay_alu instid0(VALU_DEP_1)
	v_add_min_u32_e64 v1, 0x80000001, v1, v1
.LBB27_406:
	s_or_b32 exec_lo, exec_lo, s12
	v_mov_b32_e32 v20, 0
	s_movk_i32 s3, 0x1388
	s_brev_b32 s2, 12
.LBB27_407:                             ; =>This Inner Loop Header: Depth=1
	v_mul_hi_u32 v2, 0xbc8f1391, v1
	s_delay_alu instid0(VALU_DEP_1) | instskip(NEXT) | instid1(VALU_DEP_1)
	v_lshrrev_b32_e32 v2, 15, v2
	v_mul_u32_u24_e32 v3, 0xadc8, v2
	s_delay_alu instid0(VALU_DEP_1) | instskip(SKIP_1) | instid1(VALU_DEP_2)
	v_sub_nc_u32_e32 v1, v1, v3
	v_mul_u32_u24_e32 v2, 0xd47, v2
	v_mul_lo_u32 v1, 0xbc8f, v1
	s_delay_alu instid0(VALU_DEP_2) | instskip(SKIP_1) | instid1(VALU_DEP_3)
	v_xor_b32_e32 v3, 0x7fffffff, v2
	v_sub_nc_u32_e32 v4, 0, v2
	v_cmp_lt_u32_e32 vcc_lo, v1, v2
	s_delay_alu instid0(VALU_DEP_2) | instskip(NEXT) | instid1(VALU_DEP_1)
	v_cndmask_b32_e32 v2, v4, v3, vcc_lo
	v_add_nc_u32_e32 v1, v2, v1
	s_delay_alu instid0(VALU_DEP_1) | instskip(NEXT) | instid1(VALU_DEP_1)
	v_mul_hi_u32 v2, 0xbc8f1391, v1
	v_lshrrev_b32_e32 v2, 15, v2
	s_delay_alu instid0(VALU_DEP_1) | instskip(SKIP_1) | instid1(VALU_DEP_2)
	v_mul_u32_u24_e32 v3, 0xadc8, v2
	v_mul_u32_u24_e32 v2, 0xd47, v2
	v_sub_nc_u32_e32 v3, v1, v3
	s_delay_alu instid0(VALU_DEP_2) | instskip(SKIP_1) | instid1(VALU_DEP_3)
	v_xor_b32_e32 v4, 0x7fffffff, v2
	v_add_nc_u32_e32 v1, -1, v1
	v_mul_lo_u32 v3, 0xbc8f, v3
	v_sub_nc_u32_e32 v5, 0, v2
	s_delay_alu instid0(VALU_DEP_2) | instskip(NEXT) | instid1(VALU_DEP_2)
	v_cmp_lt_u32_e32 vcc_lo, v3, v2
	v_cndmask_b32_e32 v2, v5, v4, vcc_lo
	s_delay_alu instid0(VALU_DEP_1) | instskip(NEXT) | instid1(VALU_DEP_1)
	v_add_nc_u32_e32 v3, v2, v3
	v_mul_hi_u32 v2, 0xbc8f1391, v3
	s_delay_alu instid0(VALU_DEP_1) | instskip(NEXT) | instid1(VALU_DEP_1)
	v_lshrrev_b32_e32 v2, 15, v2
	v_mul_u32_u24_e32 v4, 0xadc8, v2
	v_mul_u32_u24_e32 v2, 0xd47, v2
	s_delay_alu instid0(VALU_DEP_2) | instskip(NEXT) | instid1(VALU_DEP_2)
	v_sub_nc_u32_e32 v4, v3, v4
	v_xor_b32_e32 v5, 0x7fffffff, v2
	s_delay_alu instid0(VALU_DEP_2) | instskip(SKIP_1) | instid1(VALU_DEP_2)
	v_mul_lo_u32 v4, 0xbc8f, v4
	v_sub_nc_u32_e32 v6, 0, v2
	v_cmp_lt_u32_e32 vcc_lo, v4, v2
	s_delay_alu instid0(VALU_DEP_2) | instskip(NEXT) | instid1(VALU_DEP_1)
	v_dual_cndmask_b32 v2, v6, v5, vcc_lo :: v_dual_add_f32 v6, 1.0, v20
	v_add_nc_u32_e32 v4, v2, v4
	s_delay_alu instid0(VALU_DEP_1) | instskip(NEXT) | instid1(VALU_DEP_1)
	v_mul_hi_u32 v2, 0xbc8f1391, v4
	v_lshrrev_b32_e32 v2, 15, v2
	s_delay_alu instid0(VALU_DEP_1) | instskip(SKIP_2) | instid1(VALU_DEP_3)
	v_mul_u32_u24_e32 v5, 0xadc8, v2
	v_mul_u32_u24_e32 v7, 0xd47, v2
	v_cvt_f32_u32_e32 v2, v1
	v_sub_nc_u32_e32 v5, v4, v5
	s_delay_alu instid0(VALU_DEP_3) | instskip(SKIP_1) | instid1(VALU_DEP_3)
	v_xor_b32_e32 v1, 0x7fffffff, v7
	v_dual_sub_nc_u32 v21, 0, v7 :: v_dual_add_nc_u32 v4, -1, v4
	v_mul_lo_u32 v5, 0xbc8f, v5
	s_delay_alu instid0(VALU_DEP_2) | instskip(NEXT) | instid1(VALU_DEP_2)
	v_cvt_f32_u32_e32 v4, v4
	v_cmp_lt_u32_e32 vcc_lo, v5, v7
	s_delay_alu instid0(VALU_DEP_4) | instskip(NEXT) | instid1(VALU_DEP_1)
	v_dual_add_nc_u32 v3, -1, v3 :: v_dual_cndmask_b32 v1, v21, v1, vcc_lo
	v_cvt_f32_u32_e32 v3, v3
	s_delay_alu instid0(VALU_DEP_2) | instskip(NEXT) | instid1(VALU_DEP_2)
	v_add_nc_u32_e32 v1, v1, v5
	v_pk_fma_f32 v[2:3], v[2:3], s[2:3], 0 op_sel_hi:[1,0,0]
	s_delay_alu instid0(VALU_DEP_1) | instskip(NEXT) | instid1(VALU_DEP_1)
	v_pk_mul_f32 v[2:3], v[2:3], v[2:3]
	v_dual_add_nc_u32 v5, -1, v1 :: v_dual_add_f32 v7, v2, v3
	s_delay_alu instid0(VALU_DEP_1) | instskip(NEXT) | instid1(VALU_DEP_2)
	v_cvt_f32_u32_e32 v5, v5
	v_cmp_gt_f32_e32 vcc_lo, 0xf800000, v7
	s_delay_alu instid0(VALU_DEP_2) | instskip(SKIP_1) | instid1(SALU_CYCLE_1)
	v_pk_fma_f32 v[2:3], v[4:5], s[2:3], 0 op_sel_hi:[1,0,0]
	s_add_co_i32 s3, s3, -2
	s_cmp_lg_u32 s3, 0
	s_delay_alu instid0(VALU_DEP_1) | instskip(NEXT) | instid1(VALU_DEP_1)
	v_pk_mul_f32 v[2:3], v[2:3], v[2:3]
	v_add_f32_e32 v2, v2, v3
	s_delay_alu instid0(VALU_DEP_1) | instskip(NEXT) | instid1(VALU_DEP_1)
	v_dual_mul_f32 v4, 0x4f800000, v7 :: v_dual_mul_f32 v5, 0x4f800000, v2
	v_cndmask_b32_e32 v4, v7, v4, vcc_lo
	v_cmp_gt_f32_e64 s0, 0xf800000, v2
	s_delay_alu instid0(VALU_DEP_2) | instskip(SKIP_1) | instid1(TRANS32_DEP_1)
	v_sqrt_f32_e32 v3, v4
	v_nop
	v_dual_add_nc_u32 v7, -1, v3 :: v_dual_cndmask_b32 v2, v2, v5, s0
	s_delay_alu instid0(VALU_DEP_1) | instskip(NEXT) | instid1(VALU_DEP_2)
	v_dual_add_nc_u32 v5, 1, v3 :: v_dual_fma_f32 v21, -v7, v3, v4
	v_sqrt_f32_e32 v22, v2
	s_delay_alu instid0(VALU_DEP_1) | instskip(NEXT) | instid1(VALU_DEP_2)
	v_fma_f32 v23, -v5, v3, v4
	v_cmp_ge_f32_e64 s1, 0, v21
	s_delay_alu instid0(TRANS32_DEP_1) | instid1(VALU_DEP_1)
	v_dual_cndmask_b32 v3, v3, v7, s1 :: v_dual_add_nc_u32 v7, -1, v22
	s_delay_alu instid0(VALU_DEP_3) | instskip(NEXT) | instid1(VALU_DEP_2)
	v_cmp_lt_f32_e64 s1, 0, v23
	v_fma_f32 v21, -v7, v22, v2
	s_delay_alu instid0(VALU_DEP_2) | instskip(NEXT) | instid1(VALU_DEP_2)
	v_dual_cndmask_b32 v3, v3, v5, s1 :: v_dual_add_nc_u32 v5, 1, v22
	v_cmp_ge_f32_e64 s1, 0, v21
	s_delay_alu instid0(VALU_DEP_1) | instskip(NEXT) | instid1(VALU_DEP_1)
	v_dual_fma_f32 v24, -v5, v22, v2 :: v_dual_cndmask_b32 v7, v22, v7, s1
	v_cmp_lt_f32_e64 s1, 0, v24
	s_delay_alu instid0(VALU_DEP_1) | instskip(SKIP_1) | instid1(VALU_DEP_1)
	v_cndmask_b32_e64 v5, v7, v5, s1
	v_mul_f32_e32 v23, 0x37800000, v3
	v_cndmask_b32_e32 v3, v3, v23, vcc_lo
	v_cmp_class_f32_e64 vcc_lo, v4, 0x260
	s_delay_alu instid0(VALU_DEP_2) | instskip(NEXT) | instid1(VALU_DEP_1)
	v_cndmask_b32_e32 v3, v3, v4, vcc_lo
	v_cmp_nge_f32_e32 vcc_lo, 1.0, v3
	v_dual_cndmask_b32 v3, v6, v20 :: v_dual_mul_f32 v4, 0x37800000, v5
	v_cmp_class_f32_e64 vcc_lo, v2, 0x260
	s_delay_alu instid0(VALU_DEP_2) | instskip(NEXT) | instid1(VALU_DEP_1)
	v_dual_cndmask_b32 v4, v5, v4, s0 :: v_dual_add_f32 v5, 1.0, v3
	v_cndmask_b32_e32 v2, v4, v2, vcc_lo
	s_delay_alu instid0(VALU_DEP_1) | instskip(NEXT) | instid1(VALU_DEP_3)
	v_cmp_nge_f32_e32 vcc_lo, 1.0, v2
	v_cndmask_b32_e32 v20, v5, v3, vcc_lo
	s_cbranch_scc1 .LBB27_407
; %bb.408:
	v_dual_mov_b32 v1, 1 :: v_dual_add_nc_u32 v2, 0xfde800, v0
	s_mov_b32 s1, 0
	s_mov_b32 s12, exec_lo
	s_delay_alu instid0(VALU_DEP_1)
	v_cmpx_ne_u32_e32 0, v2
	s_cbranch_execz .LBB27_422
; %bb.409:
	v_mov_b32_e32 v3, 0
	v_mov_b64_e32 v[6:7], 1
	s_mov_b64 s[8:9], 0xbc8f
	s_mov_b64 s[2:3], 0xfffffffd
	;; [unrolled: 1-line block ×3, first 2 shown]
	v_mov_b64_e32 v[4:5], v[2:3]
	s_mov_b64 s[6:7], 0x80000001
	s_mov_b32 s13, 0
	s_branch .LBB27_411
.LBB27_410:                             ;   in Loop: Header=BB27_411 Depth=1
	s_or_b32 exec_lo, exec_lo, s0
	s_mul_u64 s[8:9], s[8:9], s[8:9]
	s_mov_b32 s15, s1
	s_and_b64 s[16:17], s[8:9], s[2:3]
	s_mov_b32 s0, s9
	s_mul_u64 s[18:19], s[16:17], 3
	s_mul_u64 s[20:21], s[0:1], 3
	s_mov_b32 s14, s19
	s_mul_u64 s[16:17], s[16:17], s[6:7]
	s_add_nc_u64 s[14:15], s[20:21], s[14:15]
	v_lshrrev_b64 v[22:23], 1, v[4:5]
	s_and_b64 s[20:21], s[14:15], s[4:5]
	s_mov_b32 s19, s1
	s_add_nc_u64 s[16:17], s[16:17], s[20:21]
	s_mov_b32 s23, s1
	s_mov_b32 s18, s15
	;; [unrolled: 1-line block ×3, first 2 shown]
	s_mul_u64 s[16:17], s[0:1], s[6:7]
	s_add_nc_u64 s[14:15], s[18:19], s[22:23]
	v_cmp_gt_u64_e32 vcc_lo, 2, v[4:5]
	s_add_nc_u64 s[14:15], s[16:17], s[14:15]
	v_mov_b64_e32 v[4:5], v[22:23]
	s_lshr_b64 s[14:15], s[14:15], 30
	s_delay_alu instid0(SALU_CYCLE_1)
	s_mul_u64 s[14:15], s[14:15], 0x7fffffff
	s_or_b32 s13, vcc_lo, s13
	s_sub_nc_u64 s[8:9], s[8:9], s[14:15]
	s_and_not1_b32 exec_lo, exec_lo, s13
	s_cbranch_execz .LBB27_421
.LBB27_411:                             ; =>This Inner Loop Header: Depth=1
	s_delay_alu instid0(VALU_DEP_1) | instskip(SKIP_1) | instid1(VALU_DEP_1)
	v_and_b32_e32 v1, 1, v4
	s_mov_b32 s0, exec_lo
	v_cmpx_eq_u32_e32 1, v1
	s_cbranch_execz .LBB27_410
; %bb.412:                              ;   in Loop: Header=BB27_411 Depth=1
	v_mul_u64_e32 v[6:7], s[8:9], v[6:7]
	s_delay_alu instid0(VALU_DEP_1) | instskip(NEXT) | instid1(VALU_DEP_1)
	v_mov_b32_e32 v2, v6
	v_mul_u64_e32 v[22:23], 5, v[2:3]
	s_delay_alu instid0(VALU_DEP_1) | instskip(NEXT) | instid1(VALU_DEP_1)
	v_mov_b32_e32 v2, v23
	v_mad_nc_u64_u32 v[22:23], v7, 5, v[2:3]
	s_delay_alu instid0(VALU_DEP_1) | instskip(NEXT) | instid1(VALU_DEP_1)
	v_dual_mov_b32 v2, v23 :: v_dual_mov_b32 v23, v3
	v_mad_nc_u64_u32 v[22:23], v6, 2, v[22:23]
	s_delay_alu instid0(VALU_DEP_1) | instskip(NEXT) | instid1(VALU_DEP_1)
	v_dual_mov_b32 v22, v23 :: v_dual_mov_b32 v23, v3
	v_add_nc_u64_e32 v[22:23], v[2:3], v[22:23]
	s_delay_alu instid0(VALU_DEP_1) | instskip(NEXT) | instid1(VALU_DEP_1)
	v_mad_nc_u64_u32 v[22:23], v7, 2, v[22:23]
	v_sub_nc_u64_e32 v[24:25], v[6:7], v[22:23]
	s_delay_alu instid0(VALU_DEP_1) | instskip(NEXT) | instid1(VALU_DEP_1)
	v_lshrrev_b64 v[24:25], 1, v[24:25]
	v_add_nc_u64_e32 v[22:23], v[24:25], v[22:23]
	s_delay_alu instid0(VALU_DEP_1) | instskip(NEXT) | instid1(VALU_DEP_1)
	v_lshrrev_b64 v[22:23], 30, v[22:23]
	v_mul_u64_e32 v[22:23], 0x7fffffff, v[22:23]
	s_delay_alu instid0(VALU_DEP_1)
	v_sub_nc_u64_e32 v[6:7], v[6:7], v[22:23]
	s_branch .LBB27_410
.LBB27_413:
	s_or_b32 exec_lo, exec_lo, s13
	v_add_min_u32_e64 v3, 0x80000001, v8, v8
	s_delay_alu instid0(VALU_DEP_1)
	v_add_min_u32_e64 v3, 0x80000001, v3, v3
.LBB27_414:
	s_or_b32 exec_lo, exec_lo, s12
	v_mov_b32_e32 v27, 0
	s_movk_i32 s3, 0x1388
	s_brev_b32 s2, 12
.LBB27_415:                             ; =>This Inner Loop Header: Depth=1
	v_mul_hi_u32 v4, 0xbc8f1391, v3
	s_delay_alu instid0(VALU_DEP_1) | instskip(NEXT) | instid1(VALU_DEP_1)
	v_lshrrev_b32_e32 v4, 15, v4
	v_mul_u32_u24_e32 v5, 0xadc8, v4
	s_delay_alu instid0(VALU_DEP_1) | instskip(SKIP_1) | instid1(VALU_DEP_2)
	v_sub_nc_u32_e32 v3, v3, v5
	v_mul_u32_u24_e32 v4, 0xd47, v4
	v_mul_lo_u32 v3, 0xbc8f, v3
	s_delay_alu instid0(VALU_DEP_2) | instskip(SKIP_1) | instid1(VALU_DEP_3)
	v_xor_b32_e32 v5, 0x7fffffff, v4
	v_sub_nc_u32_e32 v6, 0, v4
	v_cmp_lt_u32_e32 vcc_lo, v3, v4
	s_delay_alu instid0(VALU_DEP_2) | instskip(NEXT) | instid1(VALU_DEP_1)
	v_cndmask_b32_e32 v4, v6, v5, vcc_lo
	v_add_nc_u32_e32 v3, v4, v3
	s_delay_alu instid0(VALU_DEP_1) | instskip(NEXT) | instid1(VALU_DEP_1)
	v_mul_hi_u32 v4, 0xbc8f1391, v3
	v_lshrrev_b32_e32 v4, 15, v4
	s_delay_alu instid0(VALU_DEP_1) | instskip(SKIP_1) | instid1(VALU_DEP_2)
	v_mul_u32_u24_e32 v5, 0xadc8, v4
	v_mul_u32_u24_e32 v4, 0xd47, v4
	v_sub_nc_u32_e32 v5, v3, v5
	s_delay_alu instid0(VALU_DEP_2) | instskip(SKIP_1) | instid1(VALU_DEP_3)
	v_xor_b32_e32 v6, 0x7fffffff, v4
	v_add_nc_u32_e32 v3, -1, v3
	v_mul_lo_u32 v5, 0xbc8f, v5
	v_sub_nc_u32_e32 v7, 0, v4
	s_delay_alu instid0(VALU_DEP_2) | instskip(NEXT) | instid1(VALU_DEP_2)
	v_cmp_lt_u32_e32 vcc_lo, v5, v4
	v_cndmask_b32_e32 v4, v7, v6, vcc_lo
	s_delay_alu instid0(VALU_DEP_1) | instskip(NEXT) | instid1(VALU_DEP_1)
	v_add_nc_u32_e32 v5, v4, v5
	v_mul_hi_u32 v4, 0xbc8f1391, v5
	s_delay_alu instid0(VALU_DEP_1) | instskip(NEXT) | instid1(VALU_DEP_1)
	v_lshrrev_b32_e32 v4, 15, v4
	v_mul_u32_u24_e32 v6, 0xadc8, v4
	v_mul_u32_u24_e32 v4, 0xd47, v4
	s_delay_alu instid0(VALU_DEP_2) | instskip(NEXT) | instid1(VALU_DEP_2)
	v_sub_nc_u32_e32 v6, v5, v6
	v_xor_b32_e32 v7, 0x7fffffff, v4
	s_delay_alu instid0(VALU_DEP_2) | instskip(SKIP_1) | instid1(VALU_DEP_2)
	v_mul_lo_u32 v6, 0xbc8f, v6
	v_sub_nc_u32_e32 v8, 0, v4
	v_cmp_lt_u32_e32 vcc_lo, v6, v4
	s_delay_alu instid0(VALU_DEP_2) | instskip(NEXT) | instid1(VALU_DEP_1)
	v_cndmask_b32_e32 v4, v8, v7, vcc_lo
	v_dual_add_f32 v8, 1.0, v27 :: v_dual_add_nc_u32 v6, v4, v6
	s_delay_alu instid0(VALU_DEP_1) | instskip(NEXT) | instid1(VALU_DEP_1)
	v_mul_hi_u32 v4, 0xbc8f1391, v6
	v_lshrrev_b32_e32 v4, 15, v4
	s_delay_alu instid0(VALU_DEP_1) | instskip(SKIP_2) | instid1(VALU_DEP_3)
	v_mul_u32_u24_e32 v7, 0xadc8, v4
	v_mul_u32_u24_e32 v9, 0xd47, v4
	v_cvt_f32_u32_e32 v4, v3
	v_sub_nc_u32_e32 v7, v6, v7
	s_delay_alu instid0(VALU_DEP_3) | instskip(SKIP_1) | instid1(VALU_DEP_3)
	v_xor_b32_e32 v3, 0x7fffffff, v9
	v_dual_sub_nc_u32 v29, 0, v9 :: v_dual_add_nc_u32 v6, -1, v6
	v_mul_lo_u32 v7, 0xbc8f, v7
	s_delay_alu instid0(VALU_DEP_2) | instskip(NEXT) | instid1(VALU_DEP_2)
	v_cvt_f32_u32_e32 v6, v6
	v_cmp_lt_u32_e32 vcc_lo, v7, v9
	s_delay_alu instid0(VALU_DEP_4) | instskip(NEXT) | instid1(VALU_DEP_1)
	v_dual_add_nc_u32 v5, -1, v5 :: v_dual_cndmask_b32 v3, v29, v3, vcc_lo
	v_cvt_f32_u32_e32 v5, v5
	s_delay_alu instid0(VALU_DEP_2) | instskip(NEXT) | instid1(VALU_DEP_2)
	v_add_nc_u32_e32 v3, v3, v7
	v_pk_fma_f32 v[4:5], v[4:5], s[2:3], 0 op_sel_hi:[1,0,0]
	s_delay_alu instid0(VALU_DEP_1) | instskip(NEXT) | instid1(VALU_DEP_1)
	v_pk_mul_f32 v[4:5], v[4:5], v[4:5]
	v_dual_add_nc_u32 v7, -1, v3 :: v_dual_add_f32 v9, v4, v5
	s_delay_alu instid0(VALU_DEP_1) | instskip(NEXT) | instid1(VALU_DEP_2)
	v_cvt_f32_u32_e32 v7, v7
	v_cmp_gt_f32_e32 vcc_lo, 0xf800000, v9
	s_delay_alu instid0(VALU_DEP_2) | instskip(SKIP_1) | instid1(SALU_CYCLE_1)
	v_pk_fma_f32 v[4:5], v[6:7], s[2:3], 0 op_sel_hi:[1,0,0]
	s_add_co_i32 s3, s3, -2
	s_cmp_lg_u32 s3, 0
	s_delay_alu instid0(VALU_DEP_1) | instskip(NEXT) | instid1(VALU_DEP_1)
	v_pk_mul_f32 v[4:5], v[4:5], v[4:5]
	v_add_f32_e32 v4, v4, v5
	s_delay_alu instid0(VALU_DEP_1) | instskip(NEXT) | instid1(VALU_DEP_1)
	v_dual_mul_f32 v6, 0x4f800000, v9 :: v_dual_mul_f32 v7, 0x4f800000, v4
	v_cndmask_b32_e32 v6, v9, v6, vcc_lo
	v_cmp_gt_f32_e64 s0, 0xf800000, v4
	s_delay_alu instid0(VALU_DEP_2) | instskip(SKIP_1) | instid1(TRANS32_DEP_1)
	v_sqrt_f32_e32 v5, v6
	v_nop
	v_dual_add_nc_u32 v9, -1, v5 :: v_dual_cndmask_b32 v4, v4, v7, s0
	s_delay_alu instid0(VALU_DEP_1) | instskip(NEXT) | instid1(VALU_DEP_2)
	v_dual_add_nc_u32 v7, 1, v5 :: v_dual_fma_f32 v29, -v9, v5, v6
	v_sqrt_f32_e32 v30, v4
	s_delay_alu instid0(VALU_DEP_1) | instskip(NEXT) | instid1(VALU_DEP_2)
	v_fma_f32 v31, -v7, v5, v6
	v_cmp_ge_f32_e64 s1, 0, v29
	s_delay_alu instid0(TRANS32_DEP_1) | instid1(VALU_DEP_1)
	v_dual_cndmask_b32 v5, v5, v9, s1 :: v_dual_add_nc_u32 v9, -1, v30
	s_delay_alu instid0(VALU_DEP_3) | instskip(NEXT) | instid1(VALU_DEP_2)
	v_cmp_lt_f32_e64 s1, 0, v31
	v_fma_f32 v29, -v9, v30, v4
	s_delay_alu instid0(VALU_DEP_2) | instskip(NEXT) | instid1(VALU_DEP_2)
	v_dual_cndmask_b32 v5, v5, v7, s1 :: v_dual_add_nc_u32 v7, 1, v30
	v_cmp_ge_f32_e64 s1, 0, v29
	s_delay_alu instid0(VALU_DEP_1) | instskip(NEXT) | instid1(VALU_DEP_1)
	v_dual_fma_f32 v32, -v7, v30, v4 :: v_dual_cndmask_b32 v9, v30, v9, s1
	v_cmp_lt_f32_e64 s1, 0, v32
	s_delay_alu instid0(VALU_DEP_1) | instskip(SKIP_1) | instid1(VALU_DEP_1)
	v_cndmask_b32_e64 v7, v9, v7, s1
	v_mul_f32_e32 v31, 0x37800000, v5
	v_cndmask_b32_e32 v5, v5, v31, vcc_lo
	v_cmp_class_f32_e64 vcc_lo, v6, 0x260
	s_delay_alu instid0(VALU_DEP_2) | instskip(NEXT) | instid1(VALU_DEP_1)
	v_dual_cndmask_b32 v5, v5, v6 :: v_dual_mul_f32 v6, 0x37800000, v7
	v_cmp_nge_f32_e32 vcc_lo, 1.0, v5
	s_delay_alu instid0(VALU_DEP_2) | instskip(SKIP_1) | instid1(VALU_DEP_2)
	v_dual_cndmask_b32 v6, v7, v6, s0 :: v_dual_cndmask_b32 v5, v8, v27, vcc_lo
	v_cmp_class_f32_e64 vcc_lo, v4, 0x260
	v_dual_add_f32 v7, 1.0, v5 :: v_dual_cndmask_b32 v4, v6, v4
	s_delay_alu instid0(VALU_DEP_1) | instskip(NEXT) | instid1(VALU_DEP_2)
	v_cmp_nge_f32_e32 vcc_lo, 1.0, v4
	v_cndmask_b32_e32 v27, v7, v5, vcc_lo
	s_cbranch_scc1 .LBB27_415
; %bb.416:
	v_dual_mov_b32 v3, 1 :: v_dual_add_nc_u32 v4, 0x1117000, v2
	s_mov_b32 s1, 0
	s_mov_b32 s12, exec_lo
	s_delay_alu instid0(VALU_DEP_1)
	v_cmpx_ne_u32_e32 0, v4
	s_cbranch_execz .LBB27_430
; %bb.417:
	v_mov_b32_e32 v5, 0
	v_mov_b64_e32 v[8:9], 1
	s_mov_b64 s[8:9], 0xbc8f
	s_mov_b64 s[2:3], 0xfffffffd
	;; [unrolled: 1-line block ×3, first 2 shown]
	v_mov_b64_e32 v[6:7], v[4:5]
	s_mov_b64 s[6:7], 0x80000001
	s_mov_b32 s13, 0
	s_branch .LBB27_419
.LBB27_418:                             ;   in Loop: Header=BB27_419 Depth=1
	s_or_b32 exec_lo, exec_lo, s0
	s_mul_u64 s[8:9], s[8:9], s[8:9]
	s_mov_b32 s15, s1
	s_and_b64 s[16:17], s[8:9], s[2:3]
	s_mov_b32 s0, s9
	s_mul_u64 s[20:21], s[16:17], 3
	s_mul_u64 s[22:23], s[0:1], 3
	s_mov_b32 s14, s21
	s_mul_u64 s[16:17], s[16:17], s[6:7]
	s_add_nc_u64 s[14:15], s[22:23], s[14:15]
	v_lshrrev_b64 v[30:31], 1, v[6:7]
	s_and_b64 s[22:23], s[14:15], s[4:5]
	s_mov_b32 s21, s1
	s_add_nc_u64 s[16:17], s[16:17], s[22:23]
	s_mov_b32 s25, s1
	s_mov_b32 s20, s15
	;; [unrolled: 1-line block ×3, first 2 shown]
	s_mul_u64 s[16:17], s[0:1], s[6:7]
	s_add_nc_u64 s[14:15], s[20:21], s[24:25]
	v_cmp_gt_u64_e32 vcc_lo, 2, v[6:7]
	s_add_nc_u64 s[14:15], s[16:17], s[14:15]
	v_mov_b64_e32 v[6:7], v[30:31]
	s_lshr_b64 s[14:15], s[14:15], 30
	s_delay_alu instid0(SALU_CYCLE_1)
	s_mul_u64 s[14:15], s[14:15], 0x7fffffff
	s_or_b32 s13, vcc_lo, s13
	s_sub_nc_u64 s[8:9], s[8:9], s[14:15]
	s_and_not1_b32 exec_lo, exec_lo, s13
	s_cbranch_execz .LBB27_429
.LBB27_419:                             ; =>This Inner Loop Header: Depth=1
	s_delay_alu instid0(VALU_DEP_1) | instskip(SKIP_1) | instid1(VALU_DEP_1)
	v_and_b32_e32 v3, 1, v6
	s_mov_b32 s0, exec_lo
	v_cmpx_eq_u32_e32 1, v3
	s_cbranch_execz .LBB27_418
; %bb.420:                              ;   in Loop: Header=BB27_419 Depth=1
	v_mul_u64_e32 v[8:9], s[8:9], v[8:9]
	s_delay_alu instid0(VALU_DEP_1) | instskip(NEXT) | instid1(VALU_DEP_1)
	v_mov_b32_e32 v4, v8
	v_mul_u64_e32 v[30:31], 5, v[4:5]
	s_delay_alu instid0(VALU_DEP_1) | instskip(NEXT) | instid1(VALU_DEP_1)
	v_mov_b32_e32 v4, v31
	v_mad_nc_u64_u32 v[30:31], v9, 5, v[4:5]
	s_delay_alu instid0(VALU_DEP_1) | instskip(NEXT) | instid1(VALU_DEP_1)
	v_dual_mov_b32 v4, v31 :: v_dual_mov_b32 v31, v5
	v_mad_nc_u64_u32 v[30:31], v8, 2, v[30:31]
	s_delay_alu instid0(VALU_DEP_1) | instskip(NEXT) | instid1(VALU_DEP_1)
	v_dual_mov_b32 v30, v31 :: v_dual_mov_b32 v31, v5
	v_add_nc_u64_e32 v[30:31], v[4:5], v[30:31]
	s_delay_alu instid0(VALU_DEP_1) | instskip(NEXT) | instid1(VALU_DEP_1)
	v_mad_nc_u64_u32 v[30:31], v9, 2, v[30:31]
	v_sub_nc_u64_e32 v[32:33], v[8:9], v[30:31]
	s_delay_alu instid0(VALU_DEP_1) | instskip(NEXT) | instid1(VALU_DEP_1)
	v_lshrrev_b64 v[32:33], 1, v[32:33]
	v_add_nc_u64_e32 v[30:31], v[32:33], v[30:31]
	s_delay_alu instid0(VALU_DEP_1) | instskip(NEXT) | instid1(VALU_DEP_1)
	v_lshrrev_b64 v[30:31], 30, v[30:31]
	v_mul_u64_e32 v[30:31], 0x7fffffff, v[30:31]
	s_delay_alu instid0(VALU_DEP_1)
	v_sub_nc_u64_e32 v[8:9], v[8:9], v[30:31]
	s_branch .LBB27_418
.LBB27_421:
	s_or_b32 exec_lo, exec_lo, s13
	v_add_min_u32_e64 v1, 0x80000001, v6, v6
	s_delay_alu instid0(VALU_DEP_1)
	v_add_min_u32_e64 v1, 0x80000001, v1, v1
.LBB27_422:
	s_or_b32 exec_lo, exec_lo, s12
	v_mov_b32_e32 v21, 0
	s_movk_i32 s3, 0x1388
	s_brev_b32 s2, 12
.LBB27_423:                             ; =>This Inner Loop Header: Depth=1
	v_mul_hi_u32 v2, 0xbc8f1391, v1
	s_delay_alu instid0(VALU_DEP_1) | instskip(NEXT) | instid1(VALU_DEP_1)
	v_lshrrev_b32_e32 v2, 15, v2
	v_mul_u32_u24_e32 v3, 0xadc8, v2
	s_delay_alu instid0(VALU_DEP_1) | instskip(SKIP_1) | instid1(VALU_DEP_2)
	v_sub_nc_u32_e32 v1, v1, v3
	v_mul_u32_u24_e32 v2, 0xd47, v2
	v_mul_lo_u32 v1, 0xbc8f, v1
	s_delay_alu instid0(VALU_DEP_2) | instskip(SKIP_1) | instid1(VALU_DEP_3)
	v_xor_b32_e32 v3, 0x7fffffff, v2
	v_sub_nc_u32_e32 v4, 0, v2
	v_cmp_lt_u32_e32 vcc_lo, v1, v2
	s_delay_alu instid0(VALU_DEP_2) | instskip(NEXT) | instid1(VALU_DEP_1)
	v_cndmask_b32_e32 v2, v4, v3, vcc_lo
	v_add_nc_u32_e32 v1, v2, v1
	s_delay_alu instid0(VALU_DEP_1) | instskip(NEXT) | instid1(VALU_DEP_1)
	v_mul_hi_u32 v2, 0xbc8f1391, v1
	v_lshrrev_b32_e32 v2, 15, v2
	s_delay_alu instid0(VALU_DEP_1) | instskip(SKIP_1) | instid1(VALU_DEP_2)
	v_mul_u32_u24_e32 v3, 0xadc8, v2
	v_mul_u32_u24_e32 v2, 0xd47, v2
	v_sub_nc_u32_e32 v3, v1, v3
	s_delay_alu instid0(VALU_DEP_2) | instskip(SKIP_1) | instid1(VALU_DEP_3)
	v_xor_b32_e32 v4, 0x7fffffff, v2
	v_add_nc_u32_e32 v1, -1, v1
	v_mul_lo_u32 v3, 0xbc8f, v3
	v_sub_nc_u32_e32 v5, 0, v2
	s_delay_alu instid0(VALU_DEP_2) | instskip(NEXT) | instid1(VALU_DEP_2)
	v_cmp_lt_u32_e32 vcc_lo, v3, v2
	v_cndmask_b32_e32 v2, v5, v4, vcc_lo
	s_delay_alu instid0(VALU_DEP_1) | instskip(NEXT) | instid1(VALU_DEP_1)
	v_add_nc_u32_e32 v3, v2, v3
	v_mul_hi_u32 v2, 0xbc8f1391, v3
	s_delay_alu instid0(VALU_DEP_1) | instskip(NEXT) | instid1(VALU_DEP_1)
	v_lshrrev_b32_e32 v2, 15, v2
	v_mul_u32_u24_e32 v4, 0xadc8, v2
	v_mul_u32_u24_e32 v2, 0xd47, v2
	s_delay_alu instid0(VALU_DEP_2) | instskip(NEXT) | instid1(VALU_DEP_2)
	v_sub_nc_u32_e32 v4, v3, v4
	v_xor_b32_e32 v5, 0x7fffffff, v2
	s_delay_alu instid0(VALU_DEP_2) | instskip(SKIP_1) | instid1(VALU_DEP_2)
	v_mul_lo_u32 v4, 0xbc8f, v4
	v_sub_nc_u32_e32 v6, 0, v2
	v_cmp_lt_u32_e32 vcc_lo, v4, v2
	s_delay_alu instid0(VALU_DEP_2) | instskip(NEXT) | instid1(VALU_DEP_1)
	v_cndmask_b32_e32 v2, v6, v5, vcc_lo
	v_dual_add_f32 v6, 1.0, v21 :: v_dual_add_nc_u32 v4, v2, v4
	s_delay_alu instid0(VALU_DEP_1) | instskip(NEXT) | instid1(VALU_DEP_1)
	v_mul_hi_u32 v2, 0xbc8f1391, v4
	v_lshrrev_b32_e32 v2, 15, v2
	s_delay_alu instid0(VALU_DEP_1) | instskip(SKIP_2) | instid1(VALU_DEP_3)
	v_mul_u32_u24_e32 v5, 0xadc8, v2
	v_mul_u32_u24_e32 v7, 0xd47, v2
	v_cvt_f32_u32_e32 v2, v1
	v_sub_nc_u32_e32 v5, v4, v5
	s_delay_alu instid0(VALU_DEP_3) | instskip(SKIP_1) | instid1(VALU_DEP_3)
	v_xor_b32_e32 v1, 0x7fffffff, v7
	v_dual_sub_nc_u32 v22, 0, v7 :: v_dual_add_nc_u32 v4, -1, v4
	v_mul_lo_u32 v5, 0xbc8f, v5
	s_delay_alu instid0(VALU_DEP_2) | instskip(NEXT) | instid1(VALU_DEP_2)
	v_cvt_f32_u32_e32 v4, v4
	v_cmp_lt_u32_e32 vcc_lo, v5, v7
	s_delay_alu instid0(VALU_DEP_4) | instskip(NEXT) | instid1(VALU_DEP_1)
	v_dual_add_nc_u32 v3, -1, v3 :: v_dual_cndmask_b32 v1, v22, v1, vcc_lo
	v_cvt_f32_u32_e32 v3, v3
	s_delay_alu instid0(VALU_DEP_2) | instskip(NEXT) | instid1(VALU_DEP_2)
	v_add_nc_u32_e32 v1, v1, v5
	v_pk_fma_f32 v[2:3], v[2:3], s[2:3], 0 op_sel_hi:[1,0,0]
	s_delay_alu instid0(VALU_DEP_1) | instskip(NEXT) | instid1(VALU_DEP_1)
	v_pk_mul_f32 v[2:3], v[2:3], v[2:3]
	v_dual_add_nc_u32 v5, -1, v1 :: v_dual_add_f32 v7, v2, v3
	s_delay_alu instid0(VALU_DEP_1) | instskip(NEXT) | instid1(VALU_DEP_2)
	v_cvt_f32_u32_e32 v5, v5
	v_cmp_gt_f32_e32 vcc_lo, 0xf800000, v7
	s_delay_alu instid0(VALU_DEP_2) | instskip(SKIP_1) | instid1(SALU_CYCLE_1)
	v_pk_fma_f32 v[2:3], v[4:5], s[2:3], 0 op_sel_hi:[1,0,0]
	s_add_co_i32 s3, s3, -2
	s_cmp_lg_u32 s3, 0
	s_delay_alu instid0(VALU_DEP_1) | instskip(NEXT) | instid1(VALU_DEP_1)
	v_pk_mul_f32 v[2:3], v[2:3], v[2:3]
	v_add_f32_e32 v2, v2, v3
	s_delay_alu instid0(VALU_DEP_1) | instskip(NEXT) | instid1(VALU_DEP_1)
	v_dual_mul_f32 v4, 0x4f800000, v7 :: v_dual_mul_f32 v5, 0x4f800000, v2
	v_cndmask_b32_e32 v4, v7, v4, vcc_lo
	v_cmp_gt_f32_e64 s0, 0xf800000, v2
	s_delay_alu instid0(VALU_DEP_2) | instskip(SKIP_1) | instid1(TRANS32_DEP_1)
	v_sqrt_f32_e32 v3, v4
	v_nop
	v_dual_add_nc_u32 v7, -1, v3 :: v_dual_cndmask_b32 v2, v2, v5, s0
	s_delay_alu instid0(VALU_DEP_1) | instskip(NEXT) | instid1(VALU_DEP_2)
	v_dual_add_nc_u32 v5, 1, v3 :: v_dual_fma_f32 v22, -v7, v3, v4
	v_sqrt_f32_e32 v23, v2
	s_delay_alu instid0(VALU_DEP_1) | instskip(NEXT) | instid1(VALU_DEP_2)
	v_fma_f32 v24, -v5, v3, v4
	v_cmp_ge_f32_e64 s1, 0, v22
	s_delay_alu instid0(VALU_DEP_1) | instskip(NEXT) | instid1(VALU_DEP_3)
	v_cndmask_b32_e64 v3, v3, v7, s1
	v_cmp_lt_f32_e64 s1, 0, v24
	s_delay_alu instid0(TRANS32_DEP_1) | instid1(VALU_DEP_1)
	v_dual_add_nc_u32 v7, -1, v23 :: v_dual_cndmask_b32 v3, v3, v5, s1
	s_delay_alu instid0(VALU_DEP_1) | instskip(NEXT) | instid1(VALU_DEP_2)
	v_dual_add_nc_u32 v5, 1, v23 :: v_dual_fma_f32 v22, -v7, v23, v2
	v_mul_f32_e32 v24, 0x37800000, v3
	s_delay_alu instid0(VALU_DEP_2) | instskip(NEXT) | instid1(VALU_DEP_3)
	v_fma_f32 v25, -v5, v23, v2
	v_cmp_ge_f32_e64 s1, 0, v22
	s_delay_alu instid0(VALU_DEP_3) | instskip(SKIP_1) | instid1(VALU_DEP_2)
	v_cndmask_b32_e32 v3, v3, v24, vcc_lo
	v_cmp_class_f32_e64 vcc_lo, v4, 0x260
	v_cndmask_b32_e32 v3, v3, v4, vcc_lo
	s_delay_alu instid0(VALU_DEP_1) | instskip(SKIP_4) | instid1(VALU_DEP_3)
	v_cmp_nge_f32_e32 vcc_lo, 1.0, v3
	v_cndmask_b32_e64 v7, v23, v7, s1
	v_cmp_lt_f32_e64 s1, 0, v25
	v_cndmask_b32_e32 v3, v6, v21, vcc_lo
	v_cmp_class_f32_e64 vcc_lo, v2, 0x260
	v_cndmask_b32_e64 v5, v7, v5, s1
	s_delay_alu instid0(VALU_DEP_1) | instskip(NEXT) | instid1(VALU_DEP_1)
	v_mul_f32_e32 v4, 0x37800000, v5
	v_dual_cndmask_b32 v4, v5, v4, s0 :: v_dual_add_f32 v5, 1.0, v3
	s_delay_alu instid0(VALU_DEP_1) | instskip(NEXT) | instid1(VALU_DEP_1)
	v_cndmask_b32_e32 v2, v4, v2, vcc_lo
	v_cmp_nge_f32_e32 vcc_lo, 1.0, v2
	s_delay_alu instid0(VALU_DEP_3)
	v_cndmask_b32_e32 v21, v5, v3, vcc_lo
	s_cbranch_scc1 .LBB27_423
; %bb.424:
	v_dual_mov_b32 v1, 1 :: v_dual_add_nc_u32 v2, 0x1117000, v0
	s_mov_b32 s1, 0
	s_mov_b32 s12, exec_lo
	s_delay_alu instid0(VALU_DEP_1)
	v_cmpx_ne_u32_e32 0, v2
	s_cbranch_execz .LBB27_438
; %bb.425:
	v_mov_b32_e32 v3, 0
	v_mov_b64_e32 v[6:7], 1
	s_mov_b64 s[8:9], 0xbc8f
	s_mov_b64 s[2:3], 0xfffffffd
	;; [unrolled: 1-line block ×3, first 2 shown]
	v_mov_b64_e32 v[4:5], v[2:3]
	s_mov_b64 s[6:7], 0x80000001
	s_mov_b32 s13, 0
	s_branch .LBB27_427
.LBB27_426:                             ;   in Loop: Header=BB27_427 Depth=1
	s_or_b32 exec_lo, exec_lo, s0
	s_mul_u64 s[8:9], s[8:9], s[8:9]
	s_mov_b32 s15, s1
	s_and_b64 s[16:17], s[8:9], s[2:3]
	s_mov_b32 s0, s9
	s_mul_u64 s[18:19], s[16:17], 3
	s_mul_u64 s[20:21], s[0:1], 3
	s_mov_b32 s14, s19
	s_mul_u64 s[16:17], s[16:17], s[6:7]
	s_add_nc_u64 s[14:15], s[20:21], s[14:15]
	v_lshrrev_b64 v[22:23], 1, v[4:5]
	s_and_b64 s[20:21], s[14:15], s[4:5]
	s_mov_b32 s19, s1
	s_add_nc_u64 s[16:17], s[16:17], s[20:21]
	s_mov_b32 s23, s1
	s_mov_b32 s18, s15
	s_mov_b32 s22, s17
	s_mul_u64 s[16:17], s[0:1], s[6:7]
	s_add_nc_u64 s[14:15], s[18:19], s[22:23]
	v_cmp_gt_u64_e32 vcc_lo, 2, v[4:5]
	s_add_nc_u64 s[14:15], s[16:17], s[14:15]
	v_mov_b64_e32 v[4:5], v[22:23]
	s_lshr_b64 s[14:15], s[14:15], 30
	s_delay_alu instid0(SALU_CYCLE_1)
	s_mul_u64 s[14:15], s[14:15], 0x7fffffff
	s_or_b32 s13, vcc_lo, s13
	s_sub_nc_u64 s[8:9], s[8:9], s[14:15]
	s_and_not1_b32 exec_lo, exec_lo, s13
	s_cbranch_execz .LBB27_437
.LBB27_427:                             ; =>This Inner Loop Header: Depth=1
	s_delay_alu instid0(VALU_DEP_1) | instskip(SKIP_1) | instid1(VALU_DEP_1)
	v_and_b32_e32 v1, 1, v4
	s_mov_b32 s0, exec_lo
	v_cmpx_eq_u32_e32 1, v1
	s_cbranch_execz .LBB27_426
; %bb.428:                              ;   in Loop: Header=BB27_427 Depth=1
	v_mul_u64_e32 v[6:7], s[8:9], v[6:7]
	s_delay_alu instid0(VALU_DEP_1) | instskip(NEXT) | instid1(VALU_DEP_1)
	v_mov_b32_e32 v2, v6
	v_mul_u64_e32 v[22:23], 5, v[2:3]
	s_delay_alu instid0(VALU_DEP_1) | instskip(NEXT) | instid1(VALU_DEP_1)
	v_mov_b32_e32 v2, v23
	v_mad_nc_u64_u32 v[22:23], v7, 5, v[2:3]
	s_delay_alu instid0(VALU_DEP_1) | instskip(NEXT) | instid1(VALU_DEP_1)
	v_dual_mov_b32 v2, v23 :: v_dual_mov_b32 v23, v3
	v_mad_nc_u64_u32 v[22:23], v6, 2, v[22:23]
	s_delay_alu instid0(VALU_DEP_1) | instskip(NEXT) | instid1(VALU_DEP_1)
	v_dual_mov_b32 v22, v23 :: v_dual_mov_b32 v23, v3
	v_add_nc_u64_e32 v[22:23], v[2:3], v[22:23]
	s_delay_alu instid0(VALU_DEP_1) | instskip(NEXT) | instid1(VALU_DEP_1)
	v_mad_nc_u64_u32 v[22:23], v7, 2, v[22:23]
	v_sub_nc_u64_e32 v[24:25], v[6:7], v[22:23]
	s_delay_alu instid0(VALU_DEP_1) | instskip(NEXT) | instid1(VALU_DEP_1)
	v_lshrrev_b64 v[24:25], 1, v[24:25]
	v_add_nc_u64_e32 v[22:23], v[24:25], v[22:23]
	s_delay_alu instid0(VALU_DEP_1) | instskip(NEXT) | instid1(VALU_DEP_1)
	v_lshrrev_b64 v[22:23], 30, v[22:23]
	v_mul_u64_e32 v[22:23], 0x7fffffff, v[22:23]
	s_delay_alu instid0(VALU_DEP_1)
	v_sub_nc_u64_e32 v[6:7], v[6:7], v[22:23]
	s_branch .LBB27_426
.LBB27_429:
	s_or_b32 exec_lo, exec_lo, s13
	v_add_min_u32_e64 v3, 0x80000001, v8, v8
	s_delay_alu instid0(VALU_DEP_1)
	v_add_min_u32_e64 v3, 0x80000001, v3, v3
.LBB27_430:
	s_or_b32 exec_lo, exec_lo, s12
	v_mov_b32_e32 v8, 0
	s_movk_i32 s3, 0x1388
	s_brev_b32 s2, 12
.LBB27_431:                             ; =>This Inner Loop Header: Depth=1
	v_mul_hi_u32 v4, 0xbc8f1391, v3
	s_delay_alu instid0(VALU_DEP_1) | instskip(NEXT) | instid1(VALU_DEP_1)
	v_lshrrev_b32_e32 v4, 15, v4
	v_mul_u32_u24_e32 v5, 0xadc8, v4
	s_delay_alu instid0(VALU_DEP_1) | instskip(SKIP_1) | instid1(VALU_DEP_2)
	v_sub_nc_u32_e32 v3, v3, v5
	v_mul_u32_u24_e32 v4, 0xd47, v4
	v_mul_lo_u32 v3, 0xbc8f, v3
	s_delay_alu instid0(VALU_DEP_2) | instskip(SKIP_1) | instid1(VALU_DEP_3)
	v_xor_b32_e32 v5, 0x7fffffff, v4
	v_sub_nc_u32_e32 v6, 0, v4
	v_cmp_lt_u32_e32 vcc_lo, v3, v4
	s_delay_alu instid0(VALU_DEP_2) | instskip(NEXT) | instid1(VALU_DEP_1)
	v_cndmask_b32_e32 v4, v6, v5, vcc_lo
	v_add_nc_u32_e32 v3, v4, v3
	s_delay_alu instid0(VALU_DEP_1) | instskip(NEXT) | instid1(VALU_DEP_1)
	v_mul_hi_u32 v4, 0xbc8f1391, v3
	v_lshrrev_b32_e32 v4, 15, v4
	s_delay_alu instid0(VALU_DEP_1) | instskip(SKIP_1) | instid1(VALU_DEP_2)
	v_mul_u32_u24_e32 v5, 0xadc8, v4
	v_mul_u32_u24_e32 v4, 0xd47, v4
	v_sub_nc_u32_e32 v5, v3, v5
	s_delay_alu instid0(VALU_DEP_2) | instskip(SKIP_1) | instid1(VALU_DEP_3)
	v_xor_b32_e32 v6, 0x7fffffff, v4
	v_add_nc_u32_e32 v3, -1, v3
	v_mul_lo_u32 v5, 0xbc8f, v5
	v_sub_nc_u32_e32 v7, 0, v4
	s_delay_alu instid0(VALU_DEP_2) | instskip(NEXT) | instid1(VALU_DEP_2)
	v_cmp_lt_u32_e32 vcc_lo, v5, v4
	v_cndmask_b32_e32 v4, v7, v6, vcc_lo
	s_delay_alu instid0(VALU_DEP_1) | instskip(NEXT) | instid1(VALU_DEP_1)
	v_add_nc_u32_e32 v5, v4, v5
	v_mul_hi_u32 v4, 0xbc8f1391, v5
	s_delay_alu instid0(VALU_DEP_1) | instskip(NEXT) | instid1(VALU_DEP_1)
	v_lshrrev_b32_e32 v4, 15, v4
	v_mul_u32_u24_e32 v6, 0xadc8, v4
	v_mul_u32_u24_e32 v4, 0xd47, v4
	s_delay_alu instid0(VALU_DEP_2) | instskip(NEXT) | instid1(VALU_DEP_2)
	v_sub_nc_u32_e32 v6, v5, v6
	v_xor_b32_e32 v7, 0x7fffffff, v4
	s_delay_alu instid0(VALU_DEP_2) | instskip(SKIP_1) | instid1(VALU_DEP_2)
	v_mul_lo_u32 v6, 0xbc8f, v6
	v_sub_nc_u32_e32 v9, 0, v4
	v_cmp_lt_u32_e32 vcc_lo, v6, v4
	s_delay_alu instid0(VALU_DEP_2) | instskip(NEXT) | instid1(VALU_DEP_1)
	v_dual_cndmask_b32 v4, v9, v7 :: v_dual_add_f32 v9, 1.0, v8
	v_add_nc_u32_e32 v6, v4, v6
	s_delay_alu instid0(VALU_DEP_1) | instskip(NEXT) | instid1(VALU_DEP_1)
	v_mul_hi_u32 v4, 0xbc8f1391, v6
	v_lshrrev_b32_e32 v4, 15, v4
	s_delay_alu instid0(VALU_DEP_1) | instskip(SKIP_2) | instid1(VALU_DEP_3)
	v_mul_u32_u24_e32 v7, 0xadc8, v4
	v_mul_u32_u24_e32 v29, 0xd47, v4
	v_cvt_f32_u32_e32 v4, v3
	v_sub_nc_u32_e32 v7, v6, v7
	s_delay_alu instid0(VALU_DEP_3) | instskip(SKIP_1) | instid1(VALU_DEP_3)
	v_xor_b32_e32 v3, 0x7fffffff, v29
	v_dual_sub_nc_u32 v30, 0, v29 :: v_dual_add_nc_u32 v6, -1, v6
	v_mul_lo_u32 v7, 0xbc8f, v7
	s_delay_alu instid0(VALU_DEP_2) | instskip(NEXT) | instid1(VALU_DEP_2)
	v_cvt_f32_u32_e32 v6, v6
	v_cmp_lt_u32_e32 vcc_lo, v7, v29
	s_delay_alu instid0(VALU_DEP_4) | instskip(NEXT) | instid1(VALU_DEP_1)
	v_dual_add_nc_u32 v5, -1, v5 :: v_dual_cndmask_b32 v3, v30, v3, vcc_lo
	v_cvt_f32_u32_e32 v5, v5
	s_delay_alu instid0(VALU_DEP_2) | instskip(NEXT) | instid1(VALU_DEP_2)
	v_add_nc_u32_e32 v3, v3, v7
	v_pk_fma_f32 v[4:5], v[4:5], s[2:3], 0 op_sel_hi:[1,0,0]
	s_delay_alu instid0(VALU_DEP_1) | instskip(NEXT) | instid1(VALU_DEP_1)
	v_pk_mul_f32 v[4:5], v[4:5], v[4:5]
	v_dual_add_nc_u32 v7, -1, v3 :: v_dual_add_f32 v29, v4, v5
	s_delay_alu instid0(VALU_DEP_1) | instskip(NEXT) | instid1(VALU_DEP_2)
	v_cvt_f32_u32_e32 v7, v7
	v_cmp_gt_f32_e32 vcc_lo, 0xf800000, v29
	s_delay_alu instid0(VALU_DEP_2) | instskip(SKIP_1) | instid1(SALU_CYCLE_1)
	v_pk_fma_f32 v[4:5], v[6:7], s[2:3], 0 op_sel_hi:[1,0,0]
	s_add_co_i32 s3, s3, -2
	s_cmp_lg_u32 s3, 0
	s_delay_alu instid0(VALU_DEP_1) | instskip(NEXT) | instid1(VALU_DEP_1)
	v_pk_mul_f32 v[4:5], v[4:5], v[4:5]
	v_add_f32_e32 v4, v4, v5
	s_delay_alu instid0(VALU_DEP_1) | instskip(NEXT) | instid1(VALU_DEP_1)
	v_dual_mul_f32 v6, 0x4f800000, v29 :: v_dual_mul_f32 v7, 0x4f800000, v4
	v_cndmask_b32_e32 v6, v29, v6, vcc_lo
	v_cmp_gt_f32_e64 s0, 0xf800000, v4
	s_delay_alu instid0(VALU_DEP_2) | instskip(SKIP_1) | instid1(TRANS32_DEP_1)
	v_sqrt_f32_e32 v5, v6
	v_nop
	v_dual_add_nc_u32 v29, -1, v5 :: v_dual_cndmask_b32 v4, v4, v7, s0
	s_delay_alu instid0(VALU_DEP_1) | instskip(NEXT) | instid1(VALU_DEP_2)
	v_dual_add_nc_u32 v7, 1, v5 :: v_dual_fma_f32 v30, -v29, v5, v6
	v_sqrt_f32_e32 v31, v4
	s_delay_alu instid0(VALU_DEP_1) | instskip(NEXT) | instid1(VALU_DEP_2)
	v_fma_f32 v32, -v7, v5, v6
	v_cmp_ge_f32_e64 s1, 0, v30
	s_delay_alu instid0(TRANS32_DEP_1) | instid1(VALU_DEP_1)
	v_dual_cndmask_b32 v5, v5, v29, s1 :: v_dual_add_nc_u32 v29, -1, v31
	s_delay_alu instid0(VALU_DEP_3) | instskip(NEXT) | instid1(VALU_DEP_1)
	v_cmp_lt_f32_e64 s1, 0, v32
	v_cndmask_b32_e64 v5, v5, v7, s1
	s_delay_alu instid0(VALU_DEP_3) | instskip(NEXT) | instid1(VALU_DEP_1)
	v_dual_add_nc_u32 v7, 1, v31 :: v_dual_fma_f32 v30, -v29, v31, v4
	v_fma_f32 v33, -v7, v31, v4
	s_delay_alu instid0(VALU_DEP_2) | instskip(NEXT) | instid1(VALU_DEP_1)
	v_cmp_ge_f32_e64 s1, 0, v30
	v_cndmask_b32_e64 v29, v31, v29, s1
	v_mul_f32_e32 v32, 0x37800000, v5
	s_delay_alu instid0(VALU_DEP_4) | instskip(NEXT) | instid1(VALU_DEP_1)
	v_cmp_lt_f32_e64 s1, 0, v33
	v_cndmask_b32_e64 v7, v29, v7, s1
	s_delay_alu instid0(VALU_DEP_3) | instskip(SKIP_1) | instid1(VALU_DEP_2)
	v_cndmask_b32_e32 v5, v5, v32, vcc_lo
	v_cmp_class_f32_e64 vcc_lo, v6, 0x260
	v_dual_cndmask_b32 v5, v5, v6 :: v_dual_mul_f32 v6, 0x37800000, v7
	s_delay_alu instid0(VALU_DEP_1) | instskip(NEXT) | instid1(VALU_DEP_2)
	v_cmp_nge_f32_e32 vcc_lo, 1.0, v5
	v_dual_cndmask_b32 v6, v7, v6, s0 :: v_dual_cndmask_b32 v5, v9, v8, vcc_lo
	v_cmp_class_f32_e64 vcc_lo, v4, 0x260
	s_delay_alu instid0(VALU_DEP_2) | instskip(NEXT) | instid1(VALU_DEP_1)
	v_dual_add_f32 v7, 1.0, v5 :: v_dual_cndmask_b32 v4, v6, v4
	v_cmp_nge_f32_e32 vcc_lo, 1.0, v4
	s_delay_alu instid0(VALU_DEP_2)
	v_cndmask_b32_e32 v8, v7, v5, vcc_lo
	s_cbranch_scc1 .LBB27_431
; %bb.432:
	v_dual_mov_b32 v3, 1 :: v_dual_add_nc_u32 v2, 0x124f800, v2
	s_mov_b32 s1, 0
	s_mov_b32 s12, exec_lo
	s_delay_alu instid0(VALU_DEP_1)
	v_cmpx_ne_u32_e32 0, v2
	s_cbranch_execz .LBB27_446
; %bb.433:
	v_mov_b32_e32 v3, 0
	v_mov_b64_e32 v[6:7], 1
	s_mov_b64 s[8:9], 0xbc8f
	s_mov_b64 s[2:3], 0xfffffffd
	;; [unrolled: 1-line block ×3, first 2 shown]
	v_mov_b64_e32 v[4:5], v[2:3]
	s_mov_b64 s[6:7], 0x80000001
	s_mov_b32 s13, 0
	s_branch .LBB27_435
.LBB27_434:                             ;   in Loop: Header=BB27_435 Depth=1
	s_or_b32 exec_lo, exec_lo, s0
	s_mul_u64 s[8:9], s[8:9], s[8:9]
	s_mov_b32 s15, s1
	s_and_b64 s[16:17], s[8:9], s[2:3]
	s_mov_b32 s0, s9
	s_mul_u64 s[20:21], s[16:17], 3
	s_mul_u64 s[22:23], s[0:1], 3
	s_mov_b32 s14, s21
	s_mul_u64 s[16:17], s[16:17], s[6:7]
	s_add_nc_u64 s[14:15], s[22:23], s[14:15]
	v_lshrrev_b64 v[30:31], 1, v[4:5]
	s_and_b64 s[22:23], s[14:15], s[4:5]
	s_mov_b32 s21, s1
	s_add_nc_u64 s[16:17], s[16:17], s[22:23]
	s_mov_b32 s25, s1
	s_mov_b32 s20, s15
	;; [unrolled: 1-line block ×3, first 2 shown]
	s_mul_u64 s[16:17], s[0:1], s[6:7]
	s_add_nc_u64 s[14:15], s[20:21], s[24:25]
	v_cmp_gt_u64_e32 vcc_lo, 2, v[4:5]
	s_add_nc_u64 s[14:15], s[16:17], s[14:15]
	v_mov_b64_e32 v[4:5], v[30:31]
	s_lshr_b64 s[14:15], s[14:15], 30
	s_delay_alu instid0(SALU_CYCLE_1)
	s_mul_u64 s[14:15], s[14:15], 0x7fffffff
	s_or_b32 s13, vcc_lo, s13
	s_sub_nc_u64 s[8:9], s[8:9], s[14:15]
	s_and_not1_b32 exec_lo, exec_lo, s13
	s_cbranch_execz .LBB27_445
.LBB27_435:                             ; =>This Inner Loop Header: Depth=1
	s_delay_alu instid0(VALU_DEP_1) | instskip(SKIP_1) | instid1(VALU_DEP_1)
	v_and_b32_e32 v2, 1, v4
	s_mov_b32 s0, exec_lo
	v_cmpx_eq_u32_e32 1, v2
	s_cbranch_execz .LBB27_434
; %bb.436:                              ;   in Loop: Header=BB27_435 Depth=1
	v_mul_u64_e32 v[6:7], s[8:9], v[6:7]
	s_delay_alu instid0(VALU_DEP_1) | instskip(NEXT) | instid1(VALU_DEP_1)
	v_mov_b32_e32 v2, v6
	v_mul_u64_e32 v[30:31], 5, v[2:3]
	s_delay_alu instid0(VALU_DEP_1) | instskip(NEXT) | instid1(VALU_DEP_1)
	v_mov_b32_e32 v2, v31
	v_mad_nc_u64_u32 v[30:31], v7, 5, v[2:3]
	s_delay_alu instid0(VALU_DEP_1) | instskip(NEXT) | instid1(VALU_DEP_1)
	v_dual_mov_b32 v2, v31 :: v_dual_mov_b32 v31, v3
	v_mad_nc_u64_u32 v[30:31], v6, 2, v[30:31]
	s_delay_alu instid0(VALU_DEP_1) | instskip(NEXT) | instid1(VALU_DEP_1)
	v_dual_mov_b32 v30, v31 :: v_dual_mov_b32 v31, v3
	v_add_nc_u64_e32 v[30:31], v[2:3], v[30:31]
	s_delay_alu instid0(VALU_DEP_1) | instskip(NEXT) | instid1(VALU_DEP_1)
	v_mad_nc_u64_u32 v[30:31], v7, 2, v[30:31]
	v_sub_nc_u64_e32 v[32:33], v[6:7], v[30:31]
	s_delay_alu instid0(VALU_DEP_1) | instskip(NEXT) | instid1(VALU_DEP_1)
	v_lshrrev_b64 v[32:33], 1, v[32:33]
	v_add_nc_u64_e32 v[30:31], v[32:33], v[30:31]
	s_delay_alu instid0(VALU_DEP_1) | instskip(NEXT) | instid1(VALU_DEP_1)
	v_lshrrev_b64 v[30:31], 30, v[30:31]
	v_mul_u64_e32 v[30:31], 0x7fffffff, v[30:31]
	s_delay_alu instid0(VALU_DEP_1)
	v_sub_nc_u64_e32 v[6:7], v[6:7], v[30:31]
	s_branch .LBB27_434
.LBB27_437:
	s_or_b32 exec_lo, exec_lo, s13
	v_add_min_u32_e64 v1, 0x80000001, v6, v6
	s_delay_alu instid0(VALU_DEP_1)
	v_add_min_u32_e64 v1, 0x80000001, v1, v1
.LBB27_438:
	s_or_b32 exec_lo, exec_lo, s12
	v_mov_b32_e32 v22, 0
	s_movk_i32 s3, 0x1388
	s_brev_b32 s2, 12
.LBB27_439:                             ; =>This Inner Loop Header: Depth=1
	v_mul_hi_u32 v2, 0xbc8f1391, v1
	s_delay_alu instid0(VALU_DEP_1) | instskip(NEXT) | instid1(VALU_DEP_1)
	v_lshrrev_b32_e32 v2, 15, v2
	v_mul_u32_u24_e32 v3, 0xadc8, v2
	s_delay_alu instid0(VALU_DEP_1) | instskip(SKIP_1) | instid1(VALU_DEP_2)
	v_sub_nc_u32_e32 v1, v1, v3
	v_mul_u32_u24_e32 v2, 0xd47, v2
	v_mul_lo_u32 v1, 0xbc8f, v1
	s_delay_alu instid0(VALU_DEP_2) | instskip(SKIP_1) | instid1(VALU_DEP_3)
	v_xor_b32_e32 v3, 0x7fffffff, v2
	v_sub_nc_u32_e32 v4, 0, v2
	v_cmp_lt_u32_e32 vcc_lo, v1, v2
	s_delay_alu instid0(VALU_DEP_2) | instskip(NEXT) | instid1(VALU_DEP_1)
	v_cndmask_b32_e32 v2, v4, v3, vcc_lo
	v_add_nc_u32_e32 v1, v2, v1
	s_delay_alu instid0(VALU_DEP_1) | instskip(NEXT) | instid1(VALU_DEP_1)
	v_mul_hi_u32 v2, 0xbc8f1391, v1
	v_lshrrev_b32_e32 v2, 15, v2
	s_delay_alu instid0(VALU_DEP_1) | instskip(SKIP_1) | instid1(VALU_DEP_2)
	v_mul_u32_u24_e32 v3, 0xadc8, v2
	v_mul_u32_u24_e32 v2, 0xd47, v2
	v_sub_nc_u32_e32 v3, v1, v3
	s_delay_alu instid0(VALU_DEP_2) | instskip(SKIP_1) | instid1(VALU_DEP_3)
	v_xor_b32_e32 v4, 0x7fffffff, v2
	v_add_nc_u32_e32 v1, -1, v1
	v_mul_lo_u32 v3, 0xbc8f, v3
	v_sub_nc_u32_e32 v5, 0, v2
	s_delay_alu instid0(VALU_DEP_2) | instskip(NEXT) | instid1(VALU_DEP_2)
	v_cmp_lt_u32_e32 vcc_lo, v3, v2
	v_cndmask_b32_e32 v2, v5, v4, vcc_lo
	s_delay_alu instid0(VALU_DEP_1) | instskip(NEXT) | instid1(VALU_DEP_1)
	v_add_nc_u32_e32 v3, v2, v3
	v_mul_hi_u32 v2, 0xbc8f1391, v3
	s_delay_alu instid0(VALU_DEP_1) | instskip(NEXT) | instid1(VALU_DEP_1)
	v_lshrrev_b32_e32 v2, 15, v2
	v_mul_u32_u24_e32 v4, 0xadc8, v2
	v_mul_u32_u24_e32 v2, 0xd47, v2
	s_delay_alu instid0(VALU_DEP_2) | instskip(NEXT) | instid1(VALU_DEP_2)
	v_sub_nc_u32_e32 v4, v3, v4
	v_xor_b32_e32 v5, 0x7fffffff, v2
	s_delay_alu instid0(VALU_DEP_2) | instskip(SKIP_1) | instid1(VALU_DEP_2)
	v_mul_lo_u32 v4, 0xbc8f, v4
	v_sub_nc_u32_e32 v6, 0, v2
	v_cmp_lt_u32_e32 vcc_lo, v4, v2
	s_delay_alu instid0(VALU_DEP_2) | instskip(NEXT) | instid1(VALU_DEP_1)
	v_dual_cndmask_b32 v2, v6, v5, vcc_lo :: v_dual_add_f32 v6, 1.0, v22
	v_add_nc_u32_e32 v4, v2, v4
	s_delay_alu instid0(VALU_DEP_1) | instskip(NEXT) | instid1(VALU_DEP_1)
	v_mul_hi_u32 v2, 0xbc8f1391, v4
	v_lshrrev_b32_e32 v2, 15, v2
	s_delay_alu instid0(VALU_DEP_1) | instskip(SKIP_2) | instid1(VALU_DEP_3)
	v_mul_u32_u24_e32 v5, 0xadc8, v2
	v_mul_u32_u24_e32 v7, 0xd47, v2
	v_cvt_f32_u32_e32 v2, v1
	v_sub_nc_u32_e32 v5, v4, v5
	s_delay_alu instid0(VALU_DEP_3) | instskip(SKIP_1) | instid1(VALU_DEP_3)
	v_xor_b32_e32 v1, 0x7fffffff, v7
	v_dual_sub_nc_u32 v23, 0, v7 :: v_dual_add_nc_u32 v4, -1, v4
	v_mul_lo_u32 v5, 0xbc8f, v5
	s_delay_alu instid0(VALU_DEP_2) | instskip(NEXT) | instid1(VALU_DEP_2)
	v_cvt_f32_u32_e32 v4, v4
	v_cmp_lt_u32_e32 vcc_lo, v5, v7
	s_delay_alu instid0(VALU_DEP_4) | instskip(NEXT) | instid1(VALU_DEP_1)
	v_dual_add_nc_u32 v3, -1, v3 :: v_dual_cndmask_b32 v1, v23, v1, vcc_lo
	v_cvt_f32_u32_e32 v3, v3
	s_delay_alu instid0(VALU_DEP_2) | instskip(NEXT) | instid1(VALU_DEP_2)
	v_add_nc_u32_e32 v1, v1, v5
	v_pk_fma_f32 v[2:3], v[2:3], s[2:3], 0 op_sel_hi:[1,0,0]
	s_delay_alu instid0(VALU_DEP_1) | instskip(NEXT) | instid1(VALU_DEP_1)
	v_pk_mul_f32 v[2:3], v[2:3], v[2:3]
	v_dual_add_nc_u32 v5, -1, v1 :: v_dual_add_f32 v7, v2, v3
	s_delay_alu instid0(VALU_DEP_1) | instskip(NEXT) | instid1(VALU_DEP_2)
	v_cvt_f32_u32_e32 v5, v5
	v_cmp_gt_f32_e32 vcc_lo, 0xf800000, v7
	s_delay_alu instid0(VALU_DEP_2) | instskip(SKIP_1) | instid1(SALU_CYCLE_1)
	v_pk_fma_f32 v[2:3], v[4:5], s[2:3], 0 op_sel_hi:[1,0,0]
	s_add_co_i32 s3, s3, -2
	s_cmp_lg_u32 s3, 0
	s_delay_alu instid0(VALU_DEP_1) | instskip(NEXT) | instid1(VALU_DEP_1)
	v_pk_mul_f32 v[2:3], v[2:3], v[2:3]
	v_add_f32_e32 v2, v2, v3
	s_delay_alu instid0(VALU_DEP_1) | instskip(NEXT) | instid1(VALU_DEP_1)
	v_dual_mul_f32 v4, 0x4f800000, v7 :: v_dual_mul_f32 v5, 0x4f800000, v2
	v_cndmask_b32_e32 v4, v7, v4, vcc_lo
	v_cmp_gt_f32_e64 s0, 0xf800000, v2
	s_delay_alu instid0(VALU_DEP_2) | instskip(SKIP_1) | instid1(TRANS32_DEP_1)
	v_sqrt_f32_e32 v3, v4
	v_nop
	v_dual_add_nc_u32 v7, -1, v3 :: v_dual_cndmask_b32 v2, v2, v5, s0
	s_delay_alu instid0(VALU_DEP_1) | instskip(NEXT) | instid1(VALU_DEP_2)
	v_dual_add_nc_u32 v5, 1, v3 :: v_dual_fma_f32 v23, -v7, v3, v4
	v_sqrt_f32_e32 v24, v2
	s_delay_alu instid0(VALU_DEP_1) | instskip(NEXT) | instid1(VALU_DEP_2)
	v_fma_f32 v25, -v5, v3, v4
	v_cmp_ge_f32_e64 s1, 0, v23
	s_delay_alu instid0(TRANS32_DEP_1) | instid1(VALU_DEP_1)
	v_dual_cndmask_b32 v3, v3, v7, s1 :: v_dual_add_nc_u32 v7, -1, v24
	s_delay_alu instid0(VALU_DEP_3) | instskip(NEXT) | instid1(VALU_DEP_2)
	v_cmp_lt_f32_e64 s1, 0, v25
	v_fma_f32 v23, -v7, v24, v2
	s_delay_alu instid0(VALU_DEP_2) | instskip(NEXT) | instid1(VALU_DEP_2)
	v_dual_cndmask_b32 v3, v3, v5, s1 :: v_dual_add_nc_u32 v5, 1, v24
	v_cmp_ge_f32_e64 s1, 0, v23
	s_delay_alu instid0(VALU_DEP_1) | instskip(NEXT) | instid1(VALU_DEP_1)
	v_dual_fma_f32 v26, -v5, v24, v2 :: v_dual_cndmask_b32 v7, v24, v7, s1
	v_cmp_lt_f32_e64 s1, 0, v26
	s_delay_alu instid0(VALU_DEP_1) | instskip(SKIP_1) | instid1(VALU_DEP_1)
	v_cndmask_b32_e64 v5, v7, v5, s1
	v_mul_f32_e32 v25, 0x37800000, v3
	v_cndmask_b32_e32 v3, v3, v25, vcc_lo
	v_cmp_class_f32_e64 vcc_lo, v4, 0x260
	s_delay_alu instid0(VALU_DEP_2) | instskip(NEXT) | instid1(VALU_DEP_1)
	v_cndmask_b32_e32 v3, v3, v4, vcc_lo
	v_cmp_nge_f32_e32 vcc_lo, 1.0, v3
	v_dual_cndmask_b32 v3, v6, v22 :: v_dual_mul_f32 v4, 0x37800000, v5
	v_cmp_class_f32_e64 vcc_lo, v2, 0x260
	s_delay_alu instid0(VALU_DEP_2) | instskip(NEXT) | instid1(VALU_DEP_1)
	v_dual_cndmask_b32 v4, v5, v4, s0 :: v_dual_add_f32 v5, 1.0, v3
	v_cndmask_b32_e32 v2, v4, v2, vcc_lo
	s_delay_alu instid0(VALU_DEP_1) | instskip(NEXT) | instid1(VALU_DEP_3)
	v_cmp_nge_f32_e32 vcc_lo, 1.0, v2
	v_cndmask_b32_e32 v22, v5, v3, vcc_lo
	s_cbranch_scc1 .LBB27_439
; %bb.440:
	v_dual_mov_b32 v1, 1 :: v_dual_add_nc_u32 v2, 0x124f800, v0
	s_mov_b32 s1, 0
	s_mov_b32 s12, exec_lo
	s_delay_alu instid0(VALU_DEP_1)
	v_cmpx_ne_u32_e32 0, v2
	s_cbranch_execz .LBB27_460
; %bb.441:
	v_mov_b32_e32 v3, 0
	v_mov_b64_e32 v[6:7], 1
	s_mov_b64 s[8:9], 0xbc8f
	s_mov_b64 s[2:3], 0xfffffffd
	;; [unrolled: 1-line block ×3, first 2 shown]
	v_mov_b64_e32 v[4:5], v[2:3]
	s_mov_b64 s[6:7], 0x80000001
	s_mov_b32 s13, 0
	s_branch .LBB27_443
.LBB27_442:                             ;   in Loop: Header=BB27_443 Depth=1
	s_or_b32 exec_lo, exec_lo, s0
	s_mul_u64 s[8:9], s[8:9], s[8:9]
	s_mov_b32 s15, s1
	s_and_b64 s[16:17], s[8:9], s[2:3]
	s_mov_b32 s0, s9
	s_mul_u64 s[18:19], s[16:17], 3
	s_mul_u64 s[20:21], s[0:1], 3
	s_mov_b32 s14, s19
	s_mul_u64 s[16:17], s[16:17], s[6:7]
	s_add_nc_u64 s[14:15], s[20:21], s[14:15]
	v_lshrrev_b64 v[24:25], 1, v[4:5]
	s_and_b64 s[20:21], s[14:15], s[4:5]
	s_mov_b32 s19, s1
	s_add_nc_u64 s[16:17], s[16:17], s[20:21]
	s_mov_b32 s23, s1
	s_mov_b32 s18, s15
	;; [unrolled: 1-line block ×3, first 2 shown]
	s_mul_u64 s[16:17], s[0:1], s[6:7]
	s_add_nc_u64 s[14:15], s[18:19], s[22:23]
	v_cmp_gt_u64_e32 vcc_lo, 2, v[4:5]
	s_add_nc_u64 s[14:15], s[16:17], s[14:15]
	v_mov_b64_e32 v[4:5], v[24:25]
	s_lshr_b64 s[14:15], s[14:15], 30
	s_delay_alu instid0(SALU_CYCLE_1)
	s_mul_u64 s[14:15], s[14:15], 0x7fffffff
	s_or_b32 s13, vcc_lo, s13
	s_sub_nc_u64 s[8:9], s[8:9], s[14:15]
	s_and_not1_b32 exec_lo, exec_lo, s13
	s_cbranch_execz .LBB27_459
.LBB27_443:                             ; =>This Inner Loop Header: Depth=1
	s_delay_alu instid0(VALU_DEP_1) | instskip(SKIP_1) | instid1(VALU_DEP_1)
	v_and_b32_e32 v1, 1, v4
	s_mov_b32 s0, exec_lo
	v_cmpx_eq_u32_e32 1, v1
	s_cbranch_execz .LBB27_442
; %bb.444:                              ;   in Loop: Header=BB27_443 Depth=1
	v_mul_u64_e32 v[6:7], s[8:9], v[6:7]
	s_delay_alu instid0(VALU_DEP_1) | instskip(NEXT) | instid1(VALU_DEP_1)
	v_mov_b32_e32 v2, v6
	v_mul_u64_e32 v[24:25], 5, v[2:3]
	s_delay_alu instid0(VALU_DEP_1) | instskip(NEXT) | instid1(VALU_DEP_1)
	v_mov_b32_e32 v2, v25
	v_mad_nc_u64_u32 v[24:25], v7, 5, v[2:3]
	s_delay_alu instid0(VALU_DEP_1) | instskip(NEXT) | instid1(VALU_DEP_1)
	v_dual_mov_b32 v2, v25 :: v_dual_mov_b32 v25, v3
	v_mad_nc_u64_u32 v[24:25], v6, 2, v[24:25]
	s_delay_alu instid0(VALU_DEP_1) | instskip(NEXT) | instid1(VALU_DEP_1)
	v_dual_mov_b32 v24, v25 :: v_dual_mov_b32 v25, v3
	v_add_nc_u64_e32 v[24:25], v[2:3], v[24:25]
	s_delay_alu instid0(VALU_DEP_1) | instskip(NEXT) | instid1(VALU_DEP_1)
	v_mad_nc_u64_u32 v[24:25], v7, 2, v[24:25]
	v_sub_nc_u64_e32 v[26:27], v[6:7], v[24:25]
	s_delay_alu instid0(VALU_DEP_1) | instskip(NEXT) | instid1(VALU_DEP_1)
	v_lshrrev_b64 v[26:27], 1, v[26:27]
	v_add_nc_u64_e32 v[24:25], v[26:27], v[24:25]
	s_delay_alu instid0(VALU_DEP_1) | instskip(NEXT) | instid1(VALU_DEP_1)
	v_lshrrev_b64 v[24:25], 30, v[24:25]
	v_mul_u64_e32 v[24:25], 0x7fffffff, v[24:25]
	s_delay_alu instid0(VALU_DEP_1)
	v_sub_nc_u64_e32 v[6:7], v[6:7], v[24:25]
	s_branch .LBB27_442
.LBB27_445:
	s_or_b32 exec_lo, exec_lo, s13
	v_add_min_u32_e64 v2, 0x80000001, v6, v6
	s_delay_alu instid0(VALU_DEP_1)
	v_add_min_u32_e64 v3, 0x80000001, v2, v2
.LBB27_446:
	s_or_b32 exec_lo, exec_lo, s12
	v_mov_b32_e32 v2, 0
	s_movk_i32 s3, 0x1388
	s_brev_b32 s2, 12
.LBB27_447:                             ; =>This Inner Loop Header: Depth=1
	v_mul_hi_u32 v4, 0xbc8f1391, v3
	s_delay_alu instid0(VALU_DEP_1) | instskip(NEXT) | instid1(VALU_DEP_1)
	v_lshrrev_b32_e32 v4, 15, v4
	v_mul_u32_u24_e32 v5, 0xadc8, v4
	s_delay_alu instid0(VALU_DEP_1) | instskip(SKIP_1) | instid1(VALU_DEP_2)
	v_sub_nc_u32_e32 v3, v3, v5
	v_mul_u32_u24_e32 v4, 0xd47, v4
	v_mul_lo_u32 v3, 0xbc8f, v3
	s_delay_alu instid0(VALU_DEP_2) | instskip(SKIP_1) | instid1(VALU_DEP_3)
	v_xor_b32_e32 v5, 0x7fffffff, v4
	v_sub_nc_u32_e32 v6, 0, v4
	v_cmp_lt_u32_e32 vcc_lo, v3, v4
	s_delay_alu instid0(VALU_DEP_2) | instskip(NEXT) | instid1(VALU_DEP_1)
	v_cndmask_b32_e32 v4, v6, v5, vcc_lo
	v_add_nc_u32_e32 v3, v4, v3
	s_delay_alu instid0(VALU_DEP_1) | instskip(NEXT) | instid1(VALU_DEP_1)
	v_mul_hi_u32 v4, 0xbc8f1391, v3
	v_lshrrev_b32_e32 v4, 15, v4
	s_delay_alu instid0(VALU_DEP_1) | instskip(SKIP_1) | instid1(VALU_DEP_2)
	v_mul_u32_u24_e32 v5, 0xadc8, v4
	v_mul_u32_u24_e32 v4, 0xd47, v4
	v_sub_nc_u32_e32 v5, v3, v5
	s_delay_alu instid0(VALU_DEP_2) | instskip(SKIP_1) | instid1(VALU_DEP_3)
	v_xor_b32_e32 v6, 0x7fffffff, v4
	v_add_nc_u32_e32 v3, -1, v3
	v_mul_lo_u32 v5, 0xbc8f, v5
	v_sub_nc_u32_e32 v7, 0, v4
	s_delay_alu instid0(VALU_DEP_2) | instskip(NEXT) | instid1(VALU_DEP_2)
	v_cmp_lt_u32_e32 vcc_lo, v5, v4
	v_cndmask_b32_e32 v4, v7, v6, vcc_lo
	s_delay_alu instid0(VALU_DEP_1) | instskip(NEXT) | instid1(VALU_DEP_1)
	v_add_nc_u32_e32 v5, v4, v5
	v_mul_hi_u32 v4, 0xbc8f1391, v5
	s_delay_alu instid0(VALU_DEP_1) | instskip(NEXT) | instid1(VALU_DEP_1)
	v_lshrrev_b32_e32 v4, 15, v4
	v_mul_u32_u24_e32 v6, 0xadc8, v4
	v_mul_u32_u24_e32 v4, 0xd47, v4
	s_delay_alu instid0(VALU_DEP_2) | instskip(NEXT) | instid1(VALU_DEP_2)
	v_sub_nc_u32_e32 v6, v5, v6
	v_xor_b32_e32 v7, 0x7fffffff, v4
	s_delay_alu instid0(VALU_DEP_2) | instskip(SKIP_1) | instid1(VALU_DEP_2)
	v_mul_lo_u32 v6, 0xbc8f, v6
	v_sub_nc_u32_e32 v9, 0, v4
	v_cmp_lt_u32_e32 vcc_lo, v6, v4
	s_delay_alu instid0(VALU_DEP_2) | instskip(NEXT) | instid1(VALU_DEP_1)
	v_dual_cndmask_b32 v4, v9, v7 :: v_dual_add_f32 v9, 1.0, v2
	v_add_nc_u32_e32 v6, v4, v6
	s_delay_alu instid0(VALU_DEP_1) | instskip(NEXT) | instid1(VALU_DEP_1)
	v_mul_hi_u32 v4, 0xbc8f1391, v6
	v_lshrrev_b32_e32 v4, 15, v4
	s_delay_alu instid0(VALU_DEP_1) | instskip(SKIP_2) | instid1(VALU_DEP_3)
	v_mul_u32_u24_e32 v7, 0xadc8, v4
	v_mul_u32_u24_e32 v29, 0xd47, v4
	v_cvt_f32_u32_e32 v4, v3
	v_sub_nc_u32_e32 v7, v6, v7
	s_delay_alu instid0(VALU_DEP_3) | instskip(SKIP_1) | instid1(VALU_DEP_3)
	v_xor_b32_e32 v3, 0x7fffffff, v29
	v_dual_sub_nc_u32 v30, 0, v29 :: v_dual_add_nc_u32 v6, -1, v6
	v_mul_lo_u32 v7, 0xbc8f, v7
	s_delay_alu instid0(VALU_DEP_2) | instskip(NEXT) | instid1(VALU_DEP_2)
	v_cvt_f32_u32_e32 v6, v6
	v_cmp_lt_u32_e32 vcc_lo, v7, v29
	s_delay_alu instid0(VALU_DEP_4) | instskip(NEXT) | instid1(VALU_DEP_1)
	v_dual_add_nc_u32 v5, -1, v5 :: v_dual_cndmask_b32 v3, v30, v3, vcc_lo
	v_cvt_f32_u32_e32 v5, v5
	s_delay_alu instid0(VALU_DEP_2) | instskip(NEXT) | instid1(VALU_DEP_2)
	v_add_nc_u32_e32 v3, v3, v7
	v_pk_fma_f32 v[4:5], v[4:5], s[2:3], 0 op_sel_hi:[1,0,0]
	s_delay_alu instid0(VALU_DEP_1) | instskip(NEXT) | instid1(VALU_DEP_1)
	v_pk_mul_f32 v[4:5], v[4:5], v[4:5]
	v_dual_add_nc_u32 v7, -1, v3 :: v_dual_add_f32 v29, v4, v5
	s_delay_alu instid0(VALU_DEP_1) | instskip(NEXT) | instid1(VALU_DEP_2)
	v_cvt_f32_u32_e32 v7, v7
	v_cmp_gt_f32_e32 vcc_lo, 0xf800000, v29
	s_delay_alu instid0(VALU_DEP_2) | instskip(SKIP_1) | instid1(SALU_CYCLE_1)
	v_pk_fma_f32 v[4:5], v[6:7], s[2:3], 0 op_sel_hi:[1,0,0]
	s_add_co_i32 s3, s3, -2
	s_cmp_lg_u32 s3, 0
	s_delay_alu instid0(VALU_DEP_1) | instskip(NEXT) | instid1(VALU_DEP_1)
	v_pk_mul_f32 v[4:5], v[4:5], v[4:5]
	v_add_f32_e32 v4, v4, v5
	s_delay_alu instid0(VALU_DEP_1) | instskip(NEXT) | instid1(VALU_DEP_1)
	v_dual_mul_f32 v6, 0x4f800000, v29 :: v_dual_mul_f32 v7, 0x4f800000, v4
	v_cndmask_b32_e32 v6, v29, v6, vcc_lo
	v_cmp_gt_f32_e64 s0, 0xf800000, v4
	s_delay_alu instid0(VALU_DEP_2) | instskip(SKIP_1) | instid1(TRANS32_DEP_1)
	v_sqrt_f32_e32 v5, v6
	v_nop
	v_dual_add_nc_u32 v29, -1, v5 :: v_dual_cndmask_b32 v4, v4, v7, s0
	s_delay_alu instid0(VALU_DEP_1) | instskip(NEXT) | instid1(VALU_DEP_2)
	v_dual_add_nc_u32 v7, 1, v5 :: v_dual_fma_f32 v30, -v29, v5, v6
	v_sqrt_f32_e32 v31, v4
	s_delay_alu instid0(VALU_DEP_1) | instskip(NEXT) | instid1(VALU_DEP_2)
	v_fma_f32 v32, -v7, v5, v6
	v_cmp_ge_f32_e64 s1, 0, v30
	s_delay_alu instid0(TRANS32_DEP_1) | instid1(VALU_DEP_1)
	v_dual_cndmask_b32 v5, v5, v29, s1 :: v_dual_add_nc_u32 v29, -1, v31
	s_delay_alu instid0(VALU_DEP_3) | instskip(NEXT) | instid1(VALU_DEP_1)
	v_cmp_lt_f32_e64 s1, 0, v32
	v_cndmask_b32_e64 v5, v5, v7, s1
	s_delay_alu instid0(VALU_DEP_3) | instskip(NEXT) | instid1(VALU_DEP_1)
	v_dual_add_nc_u32 v7, 1, v31 :: v_dual_fma_f32 v30, -v29, v31, v4
	v_fma_f32 v33, -v7, v31, v4
	s_delay_alu instid0(VALU_DEP_2) | instskip(NEXT) | instid1(VALU_DEP_1)
	v_cmp_ge_f32_e64 s1, 0, v30
	v_cndmask_b32_e64 v29, v31, v29, s1
	v_mul_f32_e32 v32, 0x37800000, v5
	s_delay_alu instid0(VALU_DEP_4) | instskip(NEXT) | instid1(VALU_DEP_1)
	v_cmp_lt_f32_e64 s1, 0, v33
	v_cndmask_b32_e64 v7, v29, v7, s1
	s_delay_alu instid0(VALU_DEP_3) | instskip(SKIP_1) | instid1(VALU_DEP_2)
	v_cndmask_b32_e32 v5, v5, v32, vcc_lo
	v_cmp_class_f32_e64 vcc_lo, v6, 0x260
	v_dual_cndmask_b32 v5, v5, v6 :: v_dual_mul_f32 v6, 0x37800000, v7
	s_delay_alu instid0(VALU_DEP_1) | instskip(NEXT) | instid1(VALU_DEP_2)
	v_cmp_nge_f32_e32 vcc_lo, 1.0, v5
	v_cndmask_b32_e64 v5, v7, v6, s0
	v_cndmask_b32_e32 v2, v9, v2, vcc_lo
	v_cmp_class_f32_e64 vcc_lo, v4, 0x260
	s_delay_alu instid0(VALU_DEP_1) | instskip(NEXT) | instid1(VALU_DEP_1)
	v_dual_add_f32 v6, 1.0, v2 :: v_dual_cndmask_b32 v4, v5, v4, vcc_lo
	v_cmp_nge_f32_e32 vcc_lo, 1.0, v4
	s_delay_alu instid0(VALU_DEP_2)
	v_cndmask_b32_e32 v2, v6, v2, vcc_lo
	s_cbranch_scc1 .LBB27_447
; %bb.448:
	v_dual_mul_f32 v3, 4.0, v8 :: v_dual_mul_f32 v4, 4.0, v27
	v_dual_mul_f32 v7, 4.0, v26 :: v_dual_mul_f32 v25, 4.0, v25
	v_mul_f32_e32 v22, 4.0, v22
	s_delay_alu instid0(VALU_DEP_3) | instskip(NEXT) | instid1(VALU_DEP_4)
	v_div_scale_f32 v5, null, 0x459c4000, 0x459c4000, v3
	v_div_scale_f32 v6, null, 0x459c4000, 0x459c4000, v4
	s_delay_alu instid0(VALU_DEP_4) | instskip(NEXT) | instid1(VALU_DEP_3)
	v_div_scale_f32 v31, null, 0x459c4000, 0x459c4000, v7
	v_rcp_f32_e32 v8, v5
	s_delay_alu instid0(VALU_DEP_2) | instskip(SKIP_3) | instid1(TRANS32_DEP_2)
	v_rcp_f32_e32 v9, v6
	v_div_scale_f32 v26, vcc_lo, v3, 0x459c4000, v3
	v_div_scale_f32 v27, s0, v4, 0x459c4000, v4
	v_div_scale_f32 v32, null, 0x459c4000, 0x459c4000, v25
	v_fma_f32 v29, -v5, v8, 1.0
	s_delay_alu instid0(TRANS32_DEP_1) | instskip(SKIP_2) | instid1(VALU_DEP_3)
	v_fma_f32 v30, -v6, v9, 1.0
	v_div_scale_f32 v35, s1, v7, 0x459c4000, v7
	v_mul_f32_e32 v16, 4.0, v16
	v_dual_fmac_f32 v8, v29, v8 :: v_dual_fmac_f32 v9, v30, v9
	v_rcp_f32_e32 v29, v31
	v_mul_f32_e32 v24, 4.0, v24
	v_rcp_f32_e32 v30, v32
	s_delay_alu instid0(VALU_DEP_2) | instskip(SKIP_1) | instid1(VALU_DEP_3)
	v_dual_mul_f32 v14, 4.0, v14 :: v_dual_mul_f32 v34, v27, v9
	v_mul_f32_e32 v12, 4.0, v12
	v_div_scale_f32 v39, null, 0x459c4000, 0x459c4000, v24
	s_delay_alu instid0(TRANS32_DEP_2) | instskip(SKIP_3) | instid1(VALU_DEP_4)
	v_fma_f32 v36, -v31, v29, 1.0
	v_mul_f32_e32 v33, v26, v8
	v_fma_f32 v38, -v6, v34, v27
	v_fma_f32 v48, -v32, v30, 1.0
	v_dual_mul_f32 v2, 4.0, v2 :: v_dual_fmac_f32 v29, v36, v29
	s_delay_alu instid0(VALU_DEP_4)
	v_fma_f32 v37, -v5, v33, v26
	v_rcp_f32_e32 v36, v39
	v_fmac_f32_e32 v34, v38, v9
	v_fmac_f32_e32 v30, v48, v30
	v_div_scale_f32 v38, null, 0x459c4000, 0x459c4000, v22
	v_dual_fmac_f32 v33, v37, v8 :: v_dual_mul_f32 v37, v35, v29
	s_delay_alu instid0(VALU_DEP_4) | instskip(NEXT) | instid1(TRANS32_DEP_1)
	v_fma_f32 v6, -v6, v34, v27
	v_fma_f32 v27, -v39, v36, 1.0
	s_delay_alu instid0(VALU_DEP_3) | instskip(SKIP_1) | instid1(VALU_DEP_3)
	v_fma_f32 v5, -v5, v33, v26
	v_div_scale_f32 v26, s2, v25, 0x459c4000, v25
	v_fmac_f32_e32 v36, v27, v36
	v_div_scale_f32 v27, s3, v24, 0x459c4000, v24
	s_delay_alu instid0(VALU_DEP_4) | instskip(SKIP_4) | instid1(VALU_DEP_3)
	v_div_fmas_f32 v5, v5, v8, v33
	s_mov_b32 vcc_lo, s0
	v_dual_fma_f32 v8, -v31, v37, v35 :: v_dual_mul_f32 v33, v26, v30
	v_div_fmas_f32 v6, v6, v9, v34
	v_dual_mul_f32 v9, 4.0, v23 :: v_dual_mul_f32 v23, v27, v36
	v_fmac_f32_e32 v37, v8, v29
	s_delay_alu instid0(VALU_DEP_4) | instskip(SKIP_1) | instid1(VALU_DEP_3)
	v_fma_f32 v8, -v32, v33, v26
	s_mov_b32 vcc_lo, s1
	v_div_scale_f32 v34, null, 0x459c4000, 0x459c4000, v9
	s_delay_alu instid0(VALU_DEP_2) | instskip(SKIP_1) | instid1(VALU_DEP_3)
	v_dual_fma_f32 v31, -v31, v37, v35 :: v_dual_fmac_f32 v33, v8, v30
	v_fma_f32 v8, -v39, v23, v27
	v_rcp_f32_e32 v35, v34
	v_div_fixup_f32 v4, v6, 0x459c4000, v4
	s_delay_alu instid0(VALU_DEP_3)
	v_div_fmas_f32 v29, v31, v29, v37
	v_fma_f32 v26, -v32, v33, v26
	v_fmac_f32_e32 v23, v8, v36
	v_rcp_f32_e32 v31, v38
	s_mov_b32 vcc_lo, s2
	v_fma_f32 v8, -v34, v35, 1.0
	v_div_fmas_f32 v26, v26, v30, v33
	s_mov_b32 vcc_lo, s3
	v_div_scale_f32 v33, null, 0x459c4000, 0x459c4000, v16
	s_delay_alu instid0(VALU_DEP_3) | instskip(SKIP_3) | instid1(VALU_DEP_4)
	v_dual_fmac_f32 v35, v8, v35 :: v_dual_mul_f32 v8, 4.0, v17
	v_fma_f32 v30, -v38, v31, 1.0
	v_fma_f32 v27, -v39, v23, v27
	v_div_scale_f32 v17, s0, v9, 0x459c4000, v9
	v_div_scale_f32 v32, null, 0x459c4000, 0x459c4000, v8
	s_delay_alu instid0(VALU_DEP_4) | instskip(NEXT) | instid1(VALU_DEP_4)
	v_fmac_f32_e32 v31, v30, v31
	v_div_fmas_f32 v23, v27, v36, v23
	v_div_scale_f32 v36, s1, v22, 0x459c4000, v22
	s_delay_alu instid0(VALU_DEP_4) | instskip(SKIP_4) | instid1(TRANS32_DEP_2)
	v_rcp_f32_e32 v30, v32
	v_rcp_f32_e32 v48, v33
	s_mov_b32 vcc_lo, s0
	v_div_fixup_f32 v7, v29, 0x459c4000, v7
	v_div_fixup_f32 v3, v5, 0x459c4000, v3
	v_fma_f32 v39, -v32, v30, 1.0
	s_delay_alu instid0(TRANS32_DEP_1) | instskip(NEXT) | instid1(VALU_DEP_2)
	v_fma_f32 v52, -v33, v48, 1.0
	v_fmac_f32_e32 v30, v39, v30
	v_div_scale_f32 v39, s2, v8, 0x459c4000, v8
	s_delay_alu instid0(VALU_DEP_3) | instskip(SKIP_1) | instid1(VALU_DEP_3)
	v_fmac_f32_e32 v48, v52, v48
	v_div_scale_f32 v52, s3, v16, 0x459c4000, v16
	v_dual_mul_f32 v54, v39, v30 :: v_dual_mul_f32 v49, v36, v31
	v_mul_f32_e32 v27, v17, v35
	v_mul_f32_e32 v15, 4.0, v15
	s_delay_alu instid0(VALU_DEP_2) | instskip(NEXT) | instid1(VALU_DEP_1)
	v_fma_f32 v37, -v34, v27, v17
	v_fmac_f32_e32 v27, v37, v35
	s_delay_alu instid0(VALU_DEP_1) | instskip(NEXT) | instid1(VALU_DEP_4)
	v_dual_fma_f32 v17, -v34, v27, v17 :: v_dual_fma_f32 v34, -v32, v54, v39
	v_div_scale_f32 v51, null, 0x459c4000, 0x459c4000, v15
	s_delay_alu instid0(VALU_DEP_2) | instskip(NEXT) | instid1(VALU_DEP_2)
	v_fmac_f32_e32 v54, v34, v30
	v_rcp_f32_e32 v53, v51
	v_nop
	s_delay_alu instid0(TRANS32_DEP_1) | instskip(NEXT) | instid1(VALU_DEP_1)
	v_fma_f32 v55, -v51, v53, 1.0
	v_fmac_f32_e32 v53, v55, v53
	v_fma_f32 v37, -v38, v49, v36
	v_div_scale_f32 v55, s4, v15, 0x459c4000, v15
	s_delay_alu instid0(VALU_DEP_2) | instskip(SKIP_1) | instid1(VALU_DEP_3)
	v_dual_fmac_f32 v49, v37, v31 :: v_dual_mul_f32 v37, v52, v48
	v_div_fmas_f32 v17, v17, v35, v27
	v_mul_f32_e32 v35, v55, v53
	s_mov_b32 vcc_lo, s1
	s_delay_alu instid0(VALU_DEP_3) | instskip(SKIP_2) | instid1(VALU_DEP_3)
	v_fma_f32 v27, -v38, v49, v36
	v_fma_f32 v34, -v33, v37, v52
	v_div_fixup_f32 v9, v17, 0x459c4000, v9
	v_div_fmas_f32 v27, v27, v31, v49
	s_delay_alu instid0(VALU_DEP_3)
	v_dual_fma_f32 v31, -v32, v54, v39 :: v_dual_fmac_f32 v37, v34, v48
	v_fma_f32 v32, -v51, v35, v55
	v_div_scale_f32 v34, null, 0x459c4000, 0x459c4000, v14
	s_mov_b32 vcc_lo, s2
	v_div_scale_f32 v39, null, 0x459c4000, 0x459c4000, v12
	v_fmac_f32_e32 v35, v32, v53
	v_rcp_f32_e32 v32, v34
	v_div_fmas_f32 v30, v31, v30, v54
	v_fma_f32 v31, -v33, v37, v52
	s_mov_b32 vcc_lo, s3
	s_delay_alu instid0(VALU_DEP_2) | instskip(NEXT) | instid1(VALU_DEP_2)
	v_div_fixup_f32 v8, v30, 0x459c4000, v8
	v_div_fmas_f32 v31, v31, v48, v37
	s_delay_alu instid0(TRANS32_DEP_1) | instskip(SKIP_1) | instid1(VALU_DEP_1)
	v_fma_f32 v37, -v34, v32, 1.0
	s_mov_b32 vcc_lo, s4
	v_dual_fmac_f32 v32, v37, v32 :: v_dual_mul_f32 v13, 4.0, v13
	v_fma_f32 v36, -v51, v35, v55
	s_delay_alu instid0(VALU_DEP_2) | instskip(NEXT) | instid1(VALU_DEP_2)
	v_div_scale_f32 v33, null, 0x459c4000, 0x459c4000, v13
	v_div_fmas_f32 v35, v36, v53, v35
	v_div_scale_f32 v36, vcc_lo, v14, 0x459c4000, v14
	s_delay_alu instid0(VALU_DEP_3) | instskip(SKIP_2) | instid1(VALU_DEP_3)
	v_rcp_f32_e32 v38, v33
	v_mul_f32_e32 v11, 4.0, v11
	v_div_scale_f32 v52, s0, v13, 0x459c4000, v13
	v_mul_f32_e32 v49, v36, v32
	s_delay_alu instid0(VALU_DEP_3) | instskip(NEXT) | instid1(TRANS32_DEP_1)
	v_div_scale_f32 v48, null, 0x459c4000, 0x459c4000, v11
	v_fma_f32 v37, -v33, v38, 1.0
	s_delay_alu instid0(VALU_DEP_3) | instskip(NEXT) | instid1(VALU_DEP_3)
	v_fma_f32 v55, -v34, v49, v36
	v_rcp_f32_e32 v51, v48
	s_delay_alu instid0(VALU_DEP_2) | instskip(SKIP_1) | instid1(TRANS32_DEP_2)
	v_fmac_f32_e32 v38, v37, v38
	v_rcp_f32_e32 v37, v39
	v_fma_f32 v65, -v48, v51, 1.0
	s_delay_alu instid0(VALU_DEP_2) | instskip(NEXT) | instid1(TRANS32_DEP_1)
	v_mul_f32_e32 v64, v52, v38
	v_fma_f32 v54, -v39, v37, 1.0
	s_delay_alu instid0(VALU_DEP_3) | instskip(SKIP_1) | instid1(VALU_DEP_3)
	v_dual_mul_f32 v10, 4.0, v10 :: v_dual_fmac_f32 v51, v65, v51
	v_div_scale_f32 v65, s2, v11, 0x459c4000, v11
	v_fmac_f32_e32 v37, v54, v37
	s_delay_alu instid0(VALU_DEP_3) | instskip(SKIP_2) | instid1(VALU_DEP_3)
	v_div_scale_f32 v53, null, 0x459c4000, 0x459c4000, v10
	v_div_scale_f32 v54, s1, v12, 0x459c4000, v12
	v_fmac_f32_e32 v49, v55, v32
	v_rcp_f32_e32 v66, v53
	s_delay_alu instid0(VALU_DEP_2) | instskip(NEXT) | instid1(VALU_DEP_2)
	v_dual_mul_f32 v68, v54, v37 :: v_dual_mul_f32 v69, v65, v51
	v_fma_f32 v34, -v34, v49, v36
	s_delay_alu instid0(TRANS32_DEP_1) | instskip(SKIP_1) | instid1(VALU_DEP_3)
	v_fma_f32 v67, -v53, v66, 1.0
	v_fma_f32 v55, -v33, v64, v52
	v_div_fmas_f32 v32, v34, v32, v49
	s_mov_b32 vcc_lo, s0
	s_mov_b32 s0, exec_lo
	v_fmac_f32_e32 v66, v67, v66
	v_div_scale_f32 v67, s3, v10, 0x459c4000, v10
	v_dual_fmac_f32 v64, v55, v38 :: v_dual_fma_f32 v55, -v48, v69, v65
	s_delay_alu instid0(VALU_DEP_1) | instskip(SKIP_1) | instid1(VALU_DEP_2)
	v_dual_mul_f32 v70, v67, v66 :: v_dual_fma_f32 v33, -v33, v64, v52
	v_fma_f32 v36, -v39, v68, v54
	v_dual_fmac_f32 v69, v55, v51 :: v_dual_fma_f32 v34, -v53, v70, v67
	s_delay_alu instid0(VALU_DEP_3) | instskip(NEXT) | instid1(VALU_DEP_3)
	v_div_fmas_f32 v33, v33, v38, v64
	v_fmac_f32_e32 v68, v36, v37
	s_mov_b32 vcc_lo, s1
	s_delay_alu instid0(VALU_DEP_3) | instskip(NEXT) | instid1(VALU_DEP_2)
	v_dual_fmac_f32 v70, v34, v66 :: v_dual_fma_f32 v34, -v48, v69, v65
	v_fma_f32 v36, -v39, v68, v54
	s_delay_alu instid0(VALU_DEP_1) | instskip(SKIP_1) | instid1(VALU_DEP_3)
	v_div_fmas_f32 v36, v36, v37, v68
	s_mov_b32 vcc_lo, s2
	v_div_fmas_f32 v34, v34, v51, v69
	s_mov_b32 vcc_lo, s3
	s_delay_alu instid0(VALU_DEP_2) | instskip(NEXT) | instid1(VALU_DEP_2)
	v_div_fixup_f32 v12, v36, 0x459c4000, v12
	v_div_fixup_f32 v11, v34, 0x459c4000, v11
	v_fma_f32 v37, -v53, v70, v67
	s_delay_alu instid0(VALU_DEP_1) | instskip(NEXT) | instid1(VALU_DEP_1)
	v_div_fmas_f32 v37, v37, v66, v70
	v_div_fixup_f32 v10, v37, 0x459c4000, v10
	s_delay_alu instid0(VALU_DEP_1) | instskip(SKIP_2) | instid1(VALU_DEP_3)
	v_add_f32_e32 v10, v10, v11
	v_div_fixup_f32 v11, v33, 0x459c4000, v13
	v_div_scale_f32 v13, null, 0x459c4000, 0x459c4000, v2
	v_add_f32_e32 v10, v10, v12
	v_div_fixup_f32 v12, v32, 0x459c4000, v14
	s_delay_alu instid0(VALU_DEP_3) | instskip(NEXT) | instid1(VALU_DEP_2)
	v_rcp_f32_e32 v14, v13
	v_add_f32_e32 v10, v10, v11
	v_div_fixup_f32 v11, v35, 0x459c4000, v15
	s_delay_alu instid0(VALU_DEP_2) | instskip(SKIP_1) | instid1(VALU_DEP_2)
	v_add_f32_e32 v10, v10, v12
	v_div_fixup_f32 v12, v31, 0x459c4000, v16
	v_add_f32_e32 v10, v10, v11
	s_delay_alu instid0(TRANS32_DEP_1) | instskip(NEXT) | instid1(VALU_DEP_1)
	v_fma_f32 v11, -v13, v14, 1.0
	v_dual_fmac_f32 v14, v11, v14 :: v_dual_add_f32 v10, v10, v12
	v_div_fixup_f32 v12, v27, 0x459c4000, v22
	v_div_fixup_f32 v11, v23, 0x459c4000, v24
	s_delay_alu instid0(VALU_DEP_3) | instskip(SKIP_1) | instid1(VALU_DEP_1)
	v_add_f32_e32 v8, v10, v8
	v_div_scale_f32 v10, vcc_lo, v2, 0x459c4000, v2
	v_dual_add_f32 v8, v8, v12 :: v_dual_mul_f32 v12, v10, v14
	s_delay_alu instid0(VALU_DEP_1) | instskip(SKIP_1) | instid1(VALU_DEP_2)
	v_add_f32_e32 v8, v8, v9
	v_div_fixup_f32 v9, v26, 0x459c4000, v25
	v_dual_add_f32 v8, v8, v11 :: v_dual_fma_f32 v15, -v13, v12, v10
	s_delay_alu instid0(VALU_DEP_1) | instskip(NEXT) | instid1(VALU_DEP_1)
	v_dual_add_f32 v8, v8, v9 :: v_dual_fmac_f32 v12, v15, v14
	v_dual_add_f32 v7, v8, v7 :: v_dual_fma_f32 v6, -v13, v12, v10
	s_delay_alu instid0(VALU_DEP_1) | instskip(NEXT) | instid1(VALU_DEP_2)
	v_add_f32_e32 v4, v7, v4
	v_div_fmas_f32 v5, v6, v14, v12
	s_delay_alu instid0(VALU_DEP_2) | instskip(NEXT) | instid1(VALU_DEP_2)
	v_add_f32_e32 v3, v4, v3
	v_div_fixup_f32 v2, v5, 0x459c4000, v2
	s_delay_alu instid0(VALU_DEP_1) | instskip(NEXT) | instid1(VALU_DEP_1)
	v_add_f32_e32 v2, v3, v2
	v_mov_b32_dpp v3, v2 quad_perm:[1,0,3,2] row_mask:0xf bank_mask:0xf
	s_delay_alu instid0(VALU_DEP_1) | instskip(NEXT) | instid1(VALU_DEP_1)
	v_add_f32_e32 v2, v2, v3
	v_mov_b32_dpp v3, v2 quad_perm:[2,3,0,1] row_mask:0xf bank_mask:0xf
	s_delay_alu instid0(VALU_DEP_1) | instskip(NEXT) | instid1(VALU_DEP_1)
	v_add_f32_e32 v2, v2, v3
	v_mov_b32_dpp v3, v2 row_ror:4 row_mask:0xf bank_mask:0xf
	s_delay_alu instid0(VALU_DEP_1) | instskip(NEXT) | instid1(VALU_DEP_1)
	v_add_f32_e32 v2, v2, v3
	v_mov_b32_dpp v3, v2 row_ror:8 row_mask:0xf bank_mask:0xf
	s_delay_alu instid0(VALU_DEP_1)
	v_add_f32_e32 v2, v2, v3
	ds_swizzle_b32 v3, v2 offset:swizzle(BROADCAST,32,15)
	s_wait_dscnt 0x0
	v_dual_add_f32 v2, v2, v3 :: v_dual_mov_b32 v3, 0
	ds_bpermute_b32 v3, v3, v2 offset:124
	v_mbcnt_lo_u32_b32 v2, -1, 0
	s_delay_alu instid0(VALU_DEP_1)
	v_cmpx_eq_u32_e32 0, v2
	s_cbranch_execz .LBB27_450
; %bb.449:
	v_lshrrev_b32_e32 v4, 3, v50
	s_delay_alu instid0(VALU_DEP_1)
	v_and_b32_e32 v4, 0x7c, v4
	s_wait_dscnt 0x0
	ds_store_b32 v4, v3
.LBB27_450:
	s_or_b32 exec_lo, exec_lo, s0
	s_delay_alu instid0(SALU_CYCLE_1)
	s_mov_b32 s0, exec_lo
	s_wait_storecnt 0x0
	s_wait_loadcnt_dscnt 0x0
	s_barrier_signal -1
	s_barrier_wait -1
	v_cmpx_gt_u32_e32 32, v50
	s_cbranch_execz .LBB27_452
; %bb.451:
	v_and_b32_e32 v3, 7, v2
	s_delay_alu instid0(VALU_DEP_1) | instskip(SKIP_1) | instid1(VALU_DEP_1)
	v_cmp_ne_u32_e32 vcc_lo, 7, v3
	v_add_co_ci_u32_e64 v5, null, 0, v2, vcc_lo
	v_lshlrev_b32_e32 v5, 2, v5
	v_cmp_gt_u32_e32 vcc_lo, 6, v3
	v_lshlrev_b32_e32 v4, 2, v3
	v_cndmask_b32_e64 v3, 0, 2, vcc_lo
	s_delay_alu instid0(VALU_DEP_1)
	v_add_lshl_u32 v3, v3, v2, 2
	v_lshlrev_b32_e32 v2, 2, v2
	ds_load_b32 v4, v4
	v_or_b32_e32 v2, 16, v2
	s_wait_dscnt 0x0
	ds_bpermute_b32 v5, v5, v4
	s_wait_dscnt 0x0
	v_add_f32_e32 v4, v4, v5
	ds_bpermute_b32 v3, v3, v4
	s_wait_dscnt 0x0
	v_add_f32_e32 v3, v4, v3
	;; [unrolled: 3-line block ×3, first 2 shown]
.LBB27_452:
	s_or_b32 exec_lo, exec_lo, s0
                                        ; implicit-def: $vgpr30
	s_and_not1_saveexec_b32 s40, s11
	s_cbranch_execz .LBB27_23
.LBB27_453:
	v_mov_b32_e32 v2, 0
	v_subrev_nc_u32_e32 v29, s10, v18
	s_mov_b32 s10, exec_lo
	s_delay_alu instid0(VALU_DEP_2)
	v_dual_mov_b32 v3, v2 :: v_dual_mov_b32 v4, v2
	v_dual_mov_b32 v5, v2 :: v_dual_mov_b32 v6, v2
	;; [unrolled: 1-line block ×7, first 2 shown]
	v_mov_b32_e32 v15, v2
	v_cmpx_lt_u32_e64 v50, v29
	s_cbranch_execz .LBB27_644
; %bb.454:
	v_dual_mov_b32 v3, 1 :: v_dual_add_nc_u32 v2, v30, v50
	s_mov_b32 s11, exec_lo
	s_delay_alu instid0(VALU_DEP_1) | instskip(NEXT) | instid1(VALU_DEP_1)
	v_mul_lo_u32 v2, 0x1388, v2
	v_cmpx_ne_u32_e32 0, v2
	s_cbranch_execz .LBB27_641
; %bb.455:
	v_mov_b32_e32 v3, 0
	v_mov_b64_e32 v[6:7], 1
	s_mov_b64 s[8:9], 0xbc8f
	s_mov_b64 s[0:1], 0xfffffffd
	;; [unrolled: 1-line block ×3, first 2 shown]
	v_mov_b64_e32 v[4:5], v[2:3]
	s_mov_b64 s[4:5], 0x80000001
	s_mov_b32 s7, 0
	s_mov_b32 s12, 0
	s_branch .LBB27_457
.LBB27_456:                             ;   in Loop: Header=BB27_457 Depth=1
	s_or_b32 exec_lo, exec_lo, s6
	s_mul_u64 s[8:9], s[8:9], s[8:9]
	s_mov_b32 s15, s7
	s_and_b64 s[16:17], s[8:9], s[0:1]
	s_mov_b32 s6, s9
	s_mul_u64 s[20:21], s[16:17], 3
	s_mul_u64 s[22:23], s[6:7], 3
	s_mov_b32 s14, s21
	s_mul_u64 s[16:17], s[16:17], s[4:5]
	s_add_nc_u64 s[14:15], s[22:23], s[14:15]
	v_lshrrev_b64 v[8:9], 1, v[4:5]
	s_and_b64 s[22:23], s[14:15], s[2:3]
	s_mov_b32 s21, s7
	s_add_nc_u64 s[16:17], s[16:17], s[22:23]
	s_mov_b32 s25, s7
	s_mov_b32 s20, s15
	;; [unrolled: 1-line block ×3, first 2 shown]
	s_mul_u64 s[16:17], s[6:7], s[4:5]
	s_add_nc_u64 s[14:15], s[20:21], s[24:25]
	v_cmp_gt_u64_e32 vcc_lo, 2, v[4:5]
	s_add_nc_u64 s[14:15], s[16:17], s[14:15]
	v_mov_b64_e32 v[4:5], v[8:9]
	s_lshr_b64 s[14:15], s[14:15], 30
	s_delay_alu instid0(SALU_CYCLE_1)
	s_mul_u64 s[14:15], s[14:15], 0x7fffffff
	s_or_b32 s12, vcc_lo, s12
	s_sub_nc_u64 s[8:9], s[8:9], s[14:15]
	s_and_not1_b32 exec_lo, exec_lo, s12
	s_cbranch_execz .LBB27_640
.LBB27_457:                             ; =>This Inner Loop Header: Depth=1
	s_delay_alu instid0(VALU_DEP_1) | instskip(SKIP_1) | instid1(VALU_DEP_1)
	v_and_b32_e32 v2, 1, v4
	s_mov_b32 s6, exec_lo
	v_cmpx_eq_u32_e32 1, v2
	s_cbranch_execz .LBB27_456
; %bb.458:                              ;   in Loop: Header=BB27_457 Depth=1
	v_mul_u64_e32 v[6:7], s[8:9], v[6:7]
	s_delay_alu instid0(VALU_DEP_1) | instskip(NEXT) | instid1(VALU_DEP_1)
	v_mov_b32_e32 v2, v6
	v_mul_u64_e32 v[8:9], 5, v[2:3]
	s_delay_alu instid0(VALU_DEP_1) | instskip(NEXT) | instid1(VALU_DEP_1)
	v_mov_b32_e32 v2, v9
	v_mad_nc_u64_u32 v[8:9], v7, 5, v[2:3]
	s_delay_alu instid0(VALU_DEP_1) | instskip(NEXT) | instid1(VALU_DEP_1)
	v_dual_mov_b32 v2, v9 :: v_dual_mov_b32 v9, v3
	v_mad_nc_u64_u32 v[8:9], v6, 2, v[8:9]
	s_delay_alu instid0(VALU_DEP_1) | instskip(NEXT) | instid1(VALU_DEP_1)
	v_dual_mov_b32 v8, v9 :: v_dual_mov_b32 v9, v3
	v_add_nc_u64_e32 v[8:9], v[2:3], v[8:9]
	s_delay_alu instid0(VALU_DEP_1) | instskip(NEXT) | instid1(VALU_DEP_1)
	v_mad_nc_u64_u32 v[8:9], v7, 2, v[8:9]
	v_sub_nc_u64_e32 v[10:11], v[6:7], v[8:9]
	s_delay_alu instid0(VALU_DEP_1) | instskip(NEXT) | instid1(VALU_DEP_1)
	v_lshrrev_b64 v[10:11], 1, v[10:11]
	v_add_nc_u64_e32 v[8:9], v[10:11], v[8:9]
	s_delay_alu instid0(VALU_DEP_1) | instskip(NEXT) | instid1(VALU_DEP_1)
	v_lshrrev_b64 v[8:9], 30, v[8:9]
	v_mul_u64_e32 v[8:9], 0x7fffffff, v[8:9]
	s_delay_alu instid0(VALU_DEP_1)
	v_sub_nc_u64_e32 v[6:7], v[6:7], v[8:9]
	s_branch .LBB27_456
.LBB27_459:
	s_or_b32 exec_lo, exec_lo, s13
	v_add_min_u32_e64 v1, 0x80000001, v6, v6
	s_delay_alu instid0(VALU_DEP_1)
	v_add_min_u32_e64 v1, 0x80000001, v1, v1
.LBB27_460:
	s_or_b32 exec_lo, exec_lo, s12
	v_mov_b32_e32 v23, 0
	s_movk_i32 s3, 0x1388
	s_brev_b32 s2, 12
.LBB27_461:                             ; =>This Inner Loop Header: Depth=1
	v_mul_hi_u32 v2, 0xbc8f1391, v1
	s_delay_alu instid0(VALU_DEP_1) | instskip(NEXT) | instid1(VALU_DEP_1)
	v_lshrrev_b32_e32 v2, 15, v2
	v_mul_u32_u24_e32 v3, 0xadc8, v2
	s_delay_alu instid0(VALU_DEP_1) | instskip(SKIP_1) | instid1(VALU_DEP_2)
	v_sub_nc_u32_e32 v1, v1, v3
	v_mul_u32_u24_e32 v2, 0xd47, v2
	v_mul_lo_u32 v1, 0xbc8f, v1
	s_delay_alu instid0(VALU_DEP_2) | instskip(SKIP_1) | instid1(VALU_DEP_3)
	v_xor_b32_e32 v3, 0x7fffffff, v2
	v_sub_nc_u32_e32 v4, 0, v2
	v_cmp_lt_u32_e32 vcc_lo, v1, v2
	s_delay_alu instid0(VALU_DEP_2) | instskip(NEXT) | instid1(VALU_DEP_1)
	v_cndmask_b32_e32 v2, v4, v3, vcc_lo
	v_add_nc_u32_e32 v1, v2, v1
	s_delay_alu instid0(VALU_DEP_1) | instskip(NEXT) | instid1(VALU_DEP_1)
	v_mul_hi_u32 v2, 0xbc8f1391, v1
	v_lshrrev_b32_e32 v2, 15, v2
	s_delay_alu instid0(VALU_DEP_1) | instskip(SKIP_1) | instid1(VALU_DEP_2)
	v_mul_u32_u24_e32 v3, 0xadc8, v2
	v_mul_u32_u24_e32 v2, 0xd47, v2
	v_sub_nc_u32_e32 v3, v1, v3
	s_delay_alu instid0(VALU_DEP_2) | instskip(SKIP_1) | instid1(VALU_DEP_3)
	v_xor_b32_e32 v4, 0x7fffffff, v2
	v_add_nc_u32_e32 v1, -1, v1
	v_mul_lo_u32 v3, 0xbc8f, v3
	v_sub_nc_u32_e32 v5, 0, v2
	s_delay_alu instid0(VALU_DEP_2) | instskip(NEXT) | instid1(VALU_DEP_2)
	v_cmp_lt_u32_e32 vcc_lo, v3, v2
	v_cndmask_b32_e32 v2, v5, v4, vcc_lo
	s_delay_alu instid0(VALU_DEP_1) | instskip(NEXT) | instid1(VALU_DEP_1)
	v_add_nc_u32_e32 v3, v2, v3
	v_mul_hi_u32 v2, 0xbc8f1391, v3
	s_delay_alu instid0(VALU_DEP_1) | instskip(NEXT) | instid1(VALU_DEP_1)
	v_lshrrev_b32_e32 v2, 15, v2
	v_mul_u32_u24_e32 v4, 0xadc8, v2
	v_mul_u32_u24_e32 v2, 0xd47, v2
	s_delay_alu instid0(VALU_DEP_2) | instskip(NEXT) | instid1(VALU_DEP_2)
	v_sub_nc_u32_e32 v4, v3, v4
	v_xor_b32_e32 v5, 0x7fffffff, v2
	s_delay_alu instid0(VALU_DEP_2) | instskip(SKIP_1) | instid1(VALU_DEP_2)
	v_mul_lo_u32 v4, 0xbc8f, v4
	v_sub_nc_u32_e32 v6, 0, v2
	v_cmp_lt_u32_e32 vcc_lo, v4, v2
	s_delay_alu instid0(VALU_DEP_2) | instskip(NEXT) | instid1(VALU_DEP_1)
	v_dual_cndmask_b32 v2, v6, v5, vcc_lo :: v_dual_add_f32 v6, 1.0, v23
	v_add_nc_u32_e32 v4, v2, v4
	s_delay_alu instid0(VALU_DEP_1) | instskip(NEXT) | instid1(VALU_DEP_1)
	v_mul_hi_u32 v2, 0xbc8f1391, v4
	v_lshrrev_b32_e32 v2, 15, v2
	s_delay_alu instid0(VALU_DEP_1) | instskip(SKIP_2) | instid1(VALU_DEP_3)
	v_mul_u32_u24_e32 v5, 0xadc8, v2
	v_mul_u32_u24_e32 v7, 0xd47, v2
	v_cvt_f32_u32_e32 v2, v1
	v_sub_nc_u32_e32 v5, v4, v5
	s_delay_alu instid0(VALU_DEP_3) | instskip(SKIP_1) | instid1(VALU_DEP_3)
	v_xor_b32_e32 v1, 0x7fffffff, v7
	v_dual_sub_nc_u32 v24, 0, v7 :: v_dual_add_nc_u32 v4, -1, v4
	v_mul_lo_u32 v5, 0xbc8f, v5
	s_delay_alu instid0(VALU_DEP_2) | instskip(NEXT) | instid1(VALU_DEP_2)
	v_cvt_f32_u32_e32 v4, v4
	v_cmp_lt_u32_e32 vcc_lo, v5, v7
	s_delay_alu instid0(VALU_DEP_4) | instskip(NEXT) | instid1(VALU_DEP_1)
	v_dual_add_nc_u32 v3, -1, v3 :: v_dual_cndmask_b32 v1, v24, v1, vcc_lo
	v_cvt_f32_u32_e32 v3, v3
	s_delay_alu instid0(VALU_DEP_2) | instskip(NEXT) | instid1(VALU_DEP_2)
	v_add_nc_u32_e32 v1, v1, v5
	v_pk_fma_f32 v[2:3], v[2:3], s[2:3], 0 op_sel_hi:[1,0,0]
	s_delay_alu instid0(VALU_DEP_1) | instskip(NEXT) | instid1(VALU_DEP_1)
	v_pk_mul_f32 v[2:3], v[2:3], v[2:3]
	v_dual_add_nc_u32 v5, -1, v1 :: v_dual_add_f32 v7, v2, v3
	s_delay_alu instid0(VALU_DEP_1) | instskip(NEXT) | instid1(VALU_DEP_2)
	v_cvt_f32_u32_e32 v5, v5
	v_cmp_gt_f32_e32 vcc_lo, 0xf800000, v7
	s_delay_alu instid0(VALU_DEP_2) | instskip(SKIP_1) | instid1(SALU_CYCLE_1)
	v_pk_fma_f32 v[2:3], v[4:5], s[2:3], 0 op_sel_hi:[1,0,0]
	s_add_co_i32 s3, s3, -2
	s_cmp_lg_u32 s3, 0
	s_delay_alu instid0(VALU_DEP_1) | instskip(NEXT) | instid1(VALU_DEP_1)
	v_pk_mul_f32 v[2:3], v[2:3], v[2:3]
	v_add_f32_e32 v2, v2, v3
	s_delay_alu instid0(VALU_DEP_1) | instskip(NEXT) | instid1(VALU_DEP_1)
	v_dual_mul_f32 v4, 0x4f800000, v7 :: v_dual_mul_f32 v5, 0x4f800000, v2
	v_cndmask_b32_e32 v4, v7, v4, vcc_lo
	v_cmp_gt_f32_e64 s0, 0xf800000, v2
	s_delay_alu instid0(VALU_DEP_2) | instskip(SKIP_1) | instid1(TRANS32_DEP_1)
	v_sqrt_f32_e32 v3, v4
	v_nop
	v_dual_add_nc_u32 v7, -1, v3 :: v_dual_cndmask_b32 v2, v2, v5, s0
	s_delay_alu instid0(VALU_DEP_1) | instskip(NEXT) | instid1(VALU_DEP_2)
	v_dual_add_nc_u32 v5, 1, v3 :: v_dual_fma_f32 v24, -v7, v3, v4
	v_sqrt_f32_e32 v25, v2
	s_delay_alu instid0(VALU_DEP_1) | instskip(NEXT) | instid1(VALU_DEP_2)
	v_fma_f32 v26, -v5, v3, v4
	v_cmp_ge_f32_e64 s1, 0, v24
	s_delay_alu instid0(TRANS32_DEP_1) | instid1(VALU_DEP_1)
	v_dual_cndmask_b32 v3, v3, v7, s1 :: v_dual_add_nc_u32 v7, -1, v25
	s_delay_alu instid0(VALU_DEP_3) | instskip(NEXT) | instid1(VALU_DEP_1)
	v_cmp_lt_f32_e64 s1, 0, v26
	v_cndmask_b32_e64 v3, v3, v5, s1
	s_delay_alu instid0(VALU_DEP_3) | instskip(NEXT) | instid1(VALU_DEP_1)
	v_dual_add_nc_u32 v5, 1, v25 :: v_dual_fma_f32 v24, -v7, v25, v2
	v_fma_f32 v27, -v5, v25, v2
	s_delay_alu instid0(VALU_DEP_2) | instskip(NEXT) | instid1(VALU_DEP_1)
	v_cmp_ge_f32_e64 s1, 0, v24
	v_cndmask_b32_e64 v7, v25, v7, s1
	v_mul_f32_e32 v26, 0x37800000, v3
	s_delay_alu instid0(VALU_DEP_4) | instskip(NEXT) | instid1(VALU_DEP_1)
	v_cmp_lt_f32_e64 s1, 0, v27
	v_cndmask_b32_e64 v5, v7, v5, s1
	s_delay_alu instid0(VALU_DEP_3) | instskip(SKIP_1) | instid1(VALU_DEP_2)
	v_cndmask_b32_e32 v3, v3, v26, vcc_lo
	v_cmp_class_f32_e64 vcc_lo, v4, 0x260
	v_cndmask_b32_e32 v3, v3, v4, vcc_lo
	s_delay_alu instid0(VALU_DEP_1) | instskip(SKIP_2) | instid1(VALU_DEP_2)
	v_cmp_nge_f32_e32 vcc_lo, 1.0, v3
	v_dual_cndmask_b32 v3, v6, v23 :: v_dual_mul_f32 v4, 0x37800000, v5
	v_cmp_class_f32_e64 vcc_lo, v2, 0x260
	v_dual_cndmask_b32 v4, v5, v4, s0 :: v_dual_add_f32 v5, 1.0, v3
	s_delay_alu instid0(VALU_DEP_1) | instskip(NEXT) | instid1(VALU_DEP_1)
	v_cndmask_b32_e32 v2, v4, v2, vcc_lo
	v_cmp_nge_f32_e32 vcc_lo, 1.0, v2
	s_delay_alu instid0(VALU_DEP_3)
	v_cndmask_b32_e32 v23, v5, v3, vcc_lo
	s_cbranch_scc1 .LBB27_461
; %bb.462:
	v_dual_mov_b32 v1, 1 :: v_dual_add_nc_u32 v2, 0x1388000, v0
	s_mov_b32 s1, 0
	s_mov_b32 s12, exec_lo
	s_delay_alu instid0(VALU_DEP_1)
	v_cmpx_ne_u32_e32 0, v2
	s_cbranch_execz .LBB27_468
; %bb.463:
	v_mov_b32_e32 v3, 0
	v_mov_b64_e32 v[6:7], 1
	s_mov_b64 s[8:9], 0xbc8f
	s_mov_b64 s[2:3], 0xfffffffd
	;; [unrolled: 1-line block ×3, first 2 shown]
	v_mov_b64_e32 v[4:5], v[2:3]
	s_mov_b64 s[6:7], 0x80000001
	s_mov_b32 s13, 0
	s_branch .LBB27_465
.LBB27_464:                             ;   in Loop: Header=BB27_465 Depth=1
	s_or_b32 exec_lo, exec_lo, s0
	s_mul_u64 s[8:9], s[8:9], s[8:9]
	s_mov_b32 s15, s1
	s_and_b64 s[16:17], s[8:9], s[2:3]
	s_mov_b32 s0, s9
	s_mul_u64 s[18:19], s[16:17], 3
	s_mul_u64 s[20:21], s[0:1], 3
	s_mov_b32 s14, s19
	s_mul_u64 s[16:17], s[16:17], s[6:7]
	s_add_nc_u64 s[14:15], s[20:21], s[14:15]
	v_lshrrev_b64 v[24:25], 1, v[4:5]
	s_and_b64 s[20:21], s[14:15], s[4:5]
	s_mov_b32 s19, s1
	s_add_nc_u64 s[16:17], s[16:17], s[20:21]
	s_mov_b32 s23, s1
	s_mov_b32 s18, s15
	;; [unrolled: 1-line block ×3, first 2 shown]
	s_mul_u64 s[16:17], s[0:1], s[6:7]
	s_add_nc_u64 s[14:15], s[18:19], s[22:23]
	v_cmp_gt_u64_e32 vcc_lo, 2, v[4:5]
	s_add_nc_u64 s[14:15], s[16:17], s[14:15]
	v_mov_b64_e32 v[4:5], v[24:25]
	s_lshr_b64 s[14:15], s[14:15], 30
	s_delay_alu instid0(SALU_CYCLE_1)
	s_mul_u64 s[14:15], s[14:15], 0x7fffffff
	s_or_b32 s13, vcc_lo, s13
	s_sub_nc_u64 s[8:9], s[8:9], s[14:15]
	s_and_not1_b32 exec_lo, exec_lo, s13
	s_cbranch_execz .LBB27_467
.LBB27_465:                             ; =>This Inner Loop Header: Depth=1
	s_delay_alu instid0(VALU_DEP_1) | instskip(SKIP_1) | instid1(VALU_DEP_1)
	v_and_b32_e32 v1, 1, v4
	s_mov_b32 s0, exec_lo
	v_cmpx_eq_u32_e32 1, v1
	s_cbranch_execz .LBB27_464
; %bb.466:                              ;   in Loop: Header=BB27_465 Depth=1
	v_mul_u64_e32 v[6:7], s[8:9], v[6:7]
	s_delay_alu instid0(VALU_DEP_1) | instskip(NEXT) | instid1(VALU_DEP_1)
	v_mov_b32_e32 v2, v6
	v_mul_u64_e32 v[24:25], 5, v[2:3]
	s_delay_alu instid0(VALU_DEP_1) | instskip(NEXT) | instid1(VALU_DEP_1)
	v_mov_b32_e32 v2, v25
	v_mad_nc_u64_u32 v[24:25], v7, 5, v[2:3]
	s_delay_alu instid0(VALU_DEP_1) | instskip(NEXT) | instid1(VALU_DEP_1)
	v_dual_mov_b32 v2, v25 :: v_dual_mov_b32 v25, v3
	v_mad_nc_u64_u32 v[24:25], v6, 2, v[24:25]
	s_delay_alu instid0(VALU_DEP_1) | instskip(NEXT) | instid1(VALU_DEP_1)
	v_dual_mov_b32 v24, v25 :: v_dual_mov_b32 v25, v3
	v_add_nc_u64_e32 v[24:25], v[2:3], v[24:25]
	s_delay_alu instid0(VALU_DEP_1) | instskip(NEXT) | instid1(VALU_DEP_1)
	v_mad_nc_u64_u32 v[24:25], v7, 2, v[24:25]
	v_sub_nc_u64_e32 v[26:27], v[6:7], v[24:25]
	s_delay_alu instid0(VALU_DEP_1) | instskip(NEXT) | instid1(VALU_DEP_1)
	v_lshrrev_b64 v[26:27], 1, v[26:27]
	v_add_nc_u64_e32 v[24:25], v[26:27], v[24:25]
	s_delay_alu instid0(VALU_DEP_1) | instskip(NEXT) | instid1(VALU_DEP_1)
	v_lshrrev_b64 v[24:25], 30, v[24:25]
	v_mul_u64_e32 v[24:25], 0x7fffffff, v[24:25]
	s_delay_alu instid0(VALU_DEP_1)
	v_sub_nc_u64_e32 v[6:7], v[6:7], v[24:25]
	s_branch .LBB27_464
.LBB27_467:
	s_or_b32 exec_lo, exec_lo, s13
	v_add_min_u32_e64 v1, 0x80000001, v6, v6
	s_delay_alu instid0(VALU_DEP_1)
	v_add_min_u32_e64 v1, 0x80000001, v1, v1
.LBB27_468:
	s_or_b32 exec_lo, exec_lo, s12
	v_mov_b32_e32 v24, 0
	s_movk_i32 s3, 0x1388
	s_brev_b32 s2, 12
.LBB27_469:                             ; =>This Inner Loop Header: Depth=1
	v_mul_hi_u32 v2, 0xbc8f1391, v1
	s_delay_alu instid0(VALU_DEP_1) | instskip(NEXT) | instid1(VALU_DEP_1)
	v_lshrrev_b32_e32 v2, 15, v2
	v_mul_u32_u24_e32 v3, 0xadc8, v2
	s_delay_alu instid0(VALU_DEP_1) | instskip(SKIP_1) | instid1(VALU_DEP_2)
	v_sub_nc_u32_e32 v1, v1, v3
	v_mul_u32_u24_e32 v2, 0xd47, v2
	v_mul_lo_u32 v1, 0xbc8f, v1
	s_delay_alu instid0(VALU_DEP_2) | instskip(SKIP_1) | instid1(VALU_DEP_3)
	v_xor_b32_e32 v3, 0x7fffffff, v2
	v_sub_nc_u32_e32 v4, 0, v2
	v_cmp_lt_u32_e32 vcc_lo, v1, v2
	s_delay_alu instid0(VALU_DEP_2) | instskip(NEXT) | instid1(VALU_DEP_1)
	v_cndmask_b32_e32 v2, v4, v3, vcc_lo
	v_add_nc_u32_e32 v1, v2, v1
	s_delay_alu instid0(VALU_DEP_1) | instskip(NEXT) | instid1(VALU_DEP_1)
	v_mul_hi_u32 v2, 0xbc8f1391, v1
	v_lshrrev_b32_e32 v2, 15, v2
	s_delay_alu instid0(VALU_DEP_1) | instskip(SKIP_1) | instid1(VALU_DEP_2)
	v_mul_u32_u24_e32 v3, 0xadc8, v2
	v_mul_u32_u24_e32 v2, 0xd47, v2
	v_sub_nc_u32_e32 v3, v1, v3
	s_delay_alu instid0(VALU_DEP_2) | instskip(SKIP_1) | instid1(VALU_DEP_3)
	v_xor_b32_e32 v4, 0x7fffffff, v2
	v_add_nc_u32_e32 v1, -1, v1
	v_mul_lo_u32 v3, 0xbc8f, v3
	v_sub_nc_u32_e32 v5, 0, v2
	s_delay_alu instid0(VALU_DEP_2) | instskip(NEXT) | instid1(VALU_DEP_2)
	v_cmp_lt_u32_e32 vcc_lo, v3, v2
	v_cndmask_b32_e32 v2, v5, v4, vcc_lo
	s_delay_alu instid0(VALU_DEP_1) | instskip(NEXT) | instid1(VALU_DEP_1)
	v_add_nc_u32_e32 v3, v2, v3
	v_mul_hi_u32 v2, 0xbc8f1391, v3
	s_delay_alu instid0(VALU_DEP_1) | instskip(NEXT) | instid1(VALU_DEP_1)
	v_lshrrev_b32_e32 v2, 15, v2
	v_mul_u32_u24_e32 v4, 0xadc8, v2
	v_mul_u32_u24_e32 v2, 0xd47, v2
	s_delay_alu instid0(VALU_DEP_2) | instskip(NEXT) | instid1(VALU_DEP_2)
	v_sub_nc_u32_e32 v4, v3, v4
	v_xor_b32_e32 v5, 0x7fffffff, v2
	s_delay_alu instid0(VALU_DEP_2) | instskip(SKIP_1) | instid1(VALU_DEP_2)
	v_mul_lo_u32 v4, 0xbc8f, v4
	v_sub_nc_u32_e32 v6, 0, v2
	v_cmp_lt_u32_e32 vcc_lo, v4, v2
	s_delay_alu instid0(VALU_DEP_2) | instskip(NEXT) | instid1(VALU_DEP_1)
	v_dual_cndmask_b32 v2, v6, v5, vcc_lo :: v_dual_add_f32 v6, 1.0, v24
	v_add_nc_u32_e32 v4, v2, v4
	s_delay_alu instid0(VALU_DEP_1) | instskip(NEXT) | instid1(VALU_DEP_1)
	v_mul_hi_u32 v2, 0xbc8f1391, v4
	v_lshrrev_b32_e32 v2, 15, v2
	s_delay_alu instid0(VALU_DEP_1) | instskip(SKIP_2) | instid1(VALU_DEP_3)
	v_mul_u32_u24_e32 v5, 0xadc8, v2
	v_mul_u32_u24_e32 v7, 0xd47, v2
	v_cvt_f32_u32_e32 v2, v1
	v_sub_nc_u32_e32 v5, v4, v5
	s_delay_alu instid0(VALU_DEP_3) | instskip(SKIP_1) | instid1(VALU_DEP_3)
	v_xor_b32_e32 v1, 0x7fffffff, v7
	v_dual_sub_nc_u32 v25, 0, v7 :: v_dual_add_nc_u32 v4, -1, v4
	v_mul_lo_u32 v5, 0xbc8f, v5
	s_delay_alu instid0(VALU_DEP_2) | instskip(NEXT) | instid1(VALU_DEP_2)
	v_cvt_f32_u32_e32 v4, v4
	v_cmp_lt_u32_e32 vcc_lo, v5, v7
	s_delay_alu instid0(VALU_DEP_4) | instskip(NEXT) | instid1(VALU_DEP_1)
	v_dual_add_nc_u32 v3, -1, v3 :: v_dual_cndmask_b32 v1, v25, v1, vcc_lo
	v_cvt_f32_u32_e32 v3, v3
	s_delay_alu instid0(VALU_DEP_2) | instskip(NEXT) | instid1(VALU_DEP_2)
	v_add_nc_u32_e32 v1, v1, v5
	v_pk_fma_f32 v[2:3], v[2:3], s[2:3], 0 op_sel_hi:[1,0,0]
	s_delay_alu instid0(VALU_DEP_1) | instskip(NEXT) | instid1(VALU_DEP_1)
	v_pk_mul_f32 v[2:3], v[2:3], v[2:3]
	v_dual_add_nc_u32 v5, -1, v1 :: v_dual_add_f32 v7, v2, v3
	s_delay_alu instid0(VALU_DEP_1) | instskip(NEXT) | instid1(VALU_DEP_2)
	v_cvt_f32_u32_e32 v5, v5
	v_cmp_gt_f32_e32 vcc_lo, 0xf800000, v7
	s_delay_alu instid0(VALU_DEP_2) | instskip(SKIP_1) | instid1(SALU_CYCLE_1)
	v_pk_fma_f32 v[2:3], v[4:5], s[2:3], 0 op_sel_hi:[1,0,0]
	s_add_co_i32 s3, s3, -2
	s_cmp_lg_u32 s3, 0
	s_delay_alu instid0(VALU_DEP_1) | instskip(NEXT) | instid1(VALU_DEP_1)
	v_pk_mul_f32 v[2:3], v[2:3], v[2:3]
	v_add_f32_e32 v2, v2, v3
	s_delay_alu instid0(VALU_DEP_1) | instskip(NEXT) | instid1(VALU_DEP_1)
	v_dual_mul_f32 v4, 0x4f800000, v7 :: v_dual_mul_f32 v5, 0x4f800000, v2
	v_cndmask_b32_e32 v4, v7, v4, vcc_lo
	v_cmp_gt_f32_e64 s0, 0xf800000, v2
	s_delay_alu instid0(VALU_DEP_2) | instskip(SKIP_1) | instid1(TRANS32_DEP_1)
	v_sqrt_f32_e32 v3, v4
	v_nop
	v_dual_add_nc_u32 v7, -1, v3 :: v_dual_cndmask_b32 v2, v2, v5, s0
	s_delay_alu instid0(VALU_DEP_1) | instskip(NEXT) | instid1(VALU_DEP_2)
	v_dual_add_nc_u32 v5, 1, v3 :: v_dual_fma_f32 v25, -v7, v3, v4
	v_sqrt_f32_e32 v26, v2
	s_delay_alu instid0(VALU_DEP_1) | instskip(NEXT) | instid1(VALU_DEP_2)
	v_fma_f32 v27, -v5, v3, v4
	v_cmp_ge_f32_e64 s1, 0, v25
	s_delay_alu instid0(TRANS32_DEP_1) | instid1(VALU_DEP_1)
	v_dual_cndmask_b32 v3, v3, v7, s1 :: v_dual_add_nc_u32 v7, -1, v26
	s_delay_alu instid0(VALU_DEP_3) | instskip(NEXT) | instid1(VALU_DEP_2)
	v_cmp_lt_f32_e64 s1, 0, v27
	v_fma_f32 v25, -v7, v26, v2
	s_delay_alu instid0(VALU_DEP_2) | instskip(NEXT) | instid1(VALU_DEP_2)
	v_dual_cndmask_b32 v3, v3, v5, s1 :: v_dual_add_nc_u32 v5, 1, v26
	v_cmp_ge_f32_e64 s1, 0, v25
	s_delay_alu instid0(VALU_DEP_1) | instskip(NEXT) | instid1(VALU_DEP_1)
	v_dual_fma_f32 v28, -v5, v26, v2 :: v_dual_cndmask_b32 v7, v26, v7, s1
	v_cmp_lt_f32_e64 s1, 0, v28
	s_delay_alu instid0(VALU_DEP_1) | instskip(SKIP_1) | instid1(VALU_DEP_1)
	v_cndmask_b32_e64 v5, v7, v5, s1
	v_mul_f32_e32 v27, 0x37800000, v3
	v_cndmask_b32_e32 v3, v3, v27, vcc_lo
	v_cmp_class_f32_e64 vcc_lo, v4, 0x260
	s_delay_alu instid0(VALU_DEP_2) | instskip(NEXT) | instid1(VALU_DEP_1)
	v_cndmask_b32_e32 v3, v3, v4, vcc_lo
	v_cmp_nge_f32_e32 vcc_lo, 1.0, v3
	v_dual_cndmask_b32 v3, v6, v24 :: v_dual_mul_f32 v4, 0x37800000, v5
	v_cmp_class_f32_e64 vcc_lo, v2, 0x260
	s_delay_alu instid0(VALU_DEP_2) | instskip(NEXT) | instid1(VALU_DEP_1)
	v_dual_cndmask_b32 v4, v5, v4, s0 :: v_dual_add_f32 v5, 1.0, v3
	v_cndmask_b32_e32 v2, v4, v2, vcc_lo
	s_delay_alu instid0(VALU_DEP_1) | instskip(NEXT) | instid1(VALU_DEP_3)
	v_cmp_nge_f32_e32 vcc_lo, 1.0, v2
	v_cndmask_b32_e32 v24, v5, v3, vcc_lo
	s_cbranch_scc1 .LBB27_469
; %bb.470:
	v_dual_mov_b32 v1, 1 :: v_dual_add_nc_u32 v2, 0x14c0800, v0
	s_mov_b32 s1, 0
	s_mov_b32 s12, exec_lo
	s_delay_alu instid0(VALU_DEP_1)
	v_cmpx_ne_u32_e32 0, v2
	s_cbranch_execz .LBB27_476
; %bb.471:
	v_mov_b32_e32 v3, 0
	v_mov_b64_e32 v[6:7], 1
	s_mov_b64 s[8:9], 0xbc8f
	s_mov_b64 s[2:3], 0xfffffffd
	;; [unrolled: 1-line block ×3, first 2 shown]
	v_mov_b64_e32 v[4:5], v[2:3]
	s_mov_b64 s[6:7], 0x80000001
	s_mov_b32 s13, 0
	s_branch .LBB27_473
.LBB27_472:                             ;   in Loop: Header=BB27_473 Depth=1
	s_or_b32 exec_lo, exec_lo, s0
	s_mul_u64 s[8:9], s[8:9], s[8:9]
	s_mov_b32 s15, s1
	s_and_b64 s[16:17], s[8:9], s[2:3]
	s_mov_b32 s0, s9
	s_mul_u64 s[18:19], s[16:17], 3
	s_mul_u64 s[20:21], s[0:1], 3
	s_mov_b32 s14, s19
	s_mul_u64 s[16:17], s[16:17], s[6:7]
	s_add_nc_u64 s[14:15], s[20:21], s[14:15]
	v_lshrrev_b64 v[26:27], 1, v[4:5]
	s_and_b64 s[20:21], s[14:15], s[4:5]
	s_mov_b32 s19, s1
	s_add_nc_u64 s[16:17], s[16:17], s[20:21]
	s_mov_b32 s23, s1
	s_mov_b32 s18, s15
	;; [unrolled: 1-line block ×3, first 2 shown]
	s_mul_u64 s[16:17], s[0:1], s[6:7]
	s_add_nc_u64 s[14:15], s[18:19], s[22:23]
	v_cmp_gt_u64_e32 vcc_lo, 2, v[4:5]
	s_add_nc_u64 s[14:15], s[16:17], s[14:15]
	v_mov_b64_e32 v[4:5], v[26:27]
	s_lshr_b64 s[14:15], s[14:15], 30
	s_delay_alu instid0(SALU_CYCLE_1)
	s_mul_u64 s[14:15], s[14:15], 0x7fffffff
	s_or_b32 s13, vcc_lo, s13
	s_sub_nc_u64 s[8:9], s[8:9], s[14:15]
	s_and_not1_b32 exec_lo, exec_lo, s13
	s_cbranch_execz .LBB27_475
.LBB27_473:                             ; =>This Inner Loop Header: Depth=1
	s_delay_alu instid0(VALU_DEP_1) | instskip(SKIP_1) | instid1(VALU_DEP_1)
	v_and_b32_e32 v1, 1, v4
	s_mov_b32 s0, exec_lo
	v_cmpx_eq_u32_e32 1, v1
	s_cbranch_execz .LBB27_472
; %bb.474:                              ;   in Loop: Header=BB27_473 Depth=1
	v_mul_u64_e32 v[6:7], s[8:9], v[6:7]
	s_delay_alu instid0(VALU_DEP_1) | instskip(NEXT) | instid1(VALU_DEP_1)
	v_mov_b32_e32 v2, v6
	v_mul_u64_e32 v[26:27], 5, v[2:3]
	s_delay_alu instid0(VALU_DEP_1) | instskip(NEXT) | instid1(VALU_DEP_1)
	v_mov_b32_e32 v2, v27
	v_mad_nc_u64_u32 v[26:27], v7, 5, v[2:3]
	s_delay_alu instid0(VALU_DEP_1) | instskip(NEXT) | instid1(VALU_DEP_1)
	v_dual_mov_b32 v2, v27 :: v_dual_mov_b32 v27, v3
	v_mad_nc_u64_u32 v[26:27], v6, 2, v[26:27]
	s_delay_alu instid0(VALU_DEP_1) | instskip(NEXT) | instid1(VALU_DEP_1)
	v_dual_mov_b32 v26, v27 :: v_dual_mov_b32 v27, v3
	v_add_nc_u64_e32 v[26:27], v[2:3], v[26:27]
	s_delay_alu instid0(VALU_DEP_1) | instskip(NEXT) | instid1(VALU_DEP_1)
	v_mad_nc_u64_u32 v[26:27], v7, 2, v[26:27]
	v_sub_nc_u64_e32 v[28:29], v[6:7], v[26:27]
	s_delay_alu instid0(VALU_DEP_1) | instskip(NEXT) | instid1(VALU_DEP_1)
	v_lshrrev_b64 v[28:29], 1, v[28:29]
	v_add_nc_u64_e32 v[26:27], v[28:29], v[26:27]
	s_delay_alu instid0(VALU_DEP_1) | instskip(NEXT) | instid1(VALU_DEP_1)
	v_lshrrev_b64 v[26:27], 30, v[26:27]
	v_mul_u64_e32 v[26:27], 0x7fffffff, v[26:27]
	s_delay_alu instid0(VALU_DEP_1)
	v_sub_nc_u64_e32 v[6:7], v[6:7], v[26:27]
	s_branch .LBB27_472
.LBB27_475:
	s_or_b32 exec_lo, exec_lo, s13
	v_add_min_u32_e64 v1, 0x80000001, v6, v6
	s_delay_alu instid0(VALU_DEP_1)
	v_add_min_u32_e64 v1, 0x80000001, v1, v1
.LBB27_476:
	s_or_b32 exec_lo, exec_lo, s12
	v_mov_b32_e32 v25, 0
	s_movk_i32 s3, 0x1388
	s_brev_b32 s2, 12
.LBB27_477:                             ; =>This Inner Loop Header: Depth=1
	v_mul_hi_u32 v2, 0xbc8f1391, v1
	s_delay_alu instid0(VALU_DEP_1) | instskip(NEXT) | instid1(VALU_DEP_1)
	v_lshrrev_b32_e32 v2, 15, v2
	v_mul_u32_u24_e32 v3, 0xadc8, v2
	s_delay_alu instid0(VALU_DEP_1) | instskip(SKIP_1) | instid1(VALU_DEP_2)
	v_sub_nc_u32_e32 v1, v1, v3
	v_mul_u32_u24_e32 v2, 0xd47, v2
	v_mul_lo_u32 v1, 0xbc8f, v1
	s_delay_alu instid0(VALU_DEP_2) | instskip(SKIP_1) | instid1(VALU_DEP_3)
	v_xor_b32_e32 v3, 0x7fffffff, v2
	v_sub_nc_u32_e32 v4, 0, v2
	v_cmp_lt_u32_e32 vcc_lo, v1, v2
	s_delay_alu instid0(VALU_DEP_2) | instskip(NEXT) | instid1(VALU_DEP_1)
	v_cndmask_b32_e32 v2, v4, v3, vcc_lo
	v_add_nc_u32_e32 v1, v2, v1
	s_delay_alu instid0(VALU_DEP_1) | instskip(NEXT) | instid1(VALU_DEP_1)
	v_mul_hi_u32 v2, 0xbc8f1391, v1
	v_lshrrev_b32_e32 v2, 15, v2
	s_delay_alu instid0(VALU_DEP_1) | instskip(SKIP_1) | instid1(VALU_DEP_2)
	v_mul_u32_u24_e32 v3, 0xadc8, v2
	v_mul_u32_u24_e32 v2, 0xd47, v2
	v_sub_nc_u32_e32 v3, v1, v3
	s_delay_alu instid0(VALU_DEP_2) | instskip(SKIP_1) | instid1(VALU_DEP_3)
	v_xor_b32_e32 v4, 0x7fffffff, v2
	v_add_nc_u32_e32 v1, -1, v1
	v_mul_lo_u32 v3, 0xbc8f, v3
	v_sub_nc_u32_e32 v5, 0, v2
	s_delay_alu instid0(VALU_DEP_2) | instskip(NEXT) | instid1(VALU_DEP_2)
	v_cmp_lt_u32_e32 vcc_lo, v3, v2
	v_cndmask_b32_e32 v2, v5, v4, vcc_lo
	s_delay_alu instid0(VALU_DEP_1) | instskip(NEXT) | instid1(VALU_DEP_1)
	v_add_nc_u32_e32 v3, v2, v3
	v_mul_hi_u32 v2, 0xbc8f1391, v3
	s_delay_alu instid0(VALU_DEP_1) | instskip(NEXT) | instid1(VALU_DEP_1)
	v_lshrrev_b32_e32 v2, 15, v2
	v_mul_u32_u24_e32 v4, 0xadc8, v2
	v_mul_u32_u24_e32 v2, 0xd47, v2
	s_delay_alu instid0(VALU_DEP_2) | instskip(NEXT) | instid1(VALU_DEP_2)
	v_sub_nc_u32_e32 v4, v3, v4
	v_xor_b32_e32 v5, 0x7fffffff, v2
	s_delay_alu instid0(VALU_DEP_2) | instskip(SKIP_1) | instid1(VALU_DEP_2)
	v_mul_lo_u32 v4, 0xbc8f, v4
	v_sub_nc_u32_e32 v6, 0, v2
	v_cmp_lt_u32_e32 vcc_lo, v4, v2
	s_delay_alu instid0(VALU_DEP_2) | instskip(NEXT) | instid1(VALU_DEP_1)
	v_cndmask_b32_e32 v2, v6, v5, vcc_lo
	v_dual_add_f32 v6, 1.0, v25 :: v_dual_add_nc_u32 v4, v2, v4
	s_delay_alu instid0(VALU_DEP_1) | instskip(NEXT) | instid1(VALU_DEP_1)
	v_mul_hi_u32 v2, 0xbc8f1391, v4
	v_lshrrev_b32_e32 v2, 15, v2
	s_delay_alu instid0(VALU_DEP_1) | instskip(SKIP_2) | instid1(VALU_DEP_3)
	v_mul_u32_u24_e32 v5, 0xadc8, v2
	v_mul_u32_u24_e32 v7, 0xd47, v2
	v_cvt_f32_u32_e32 v2, v1
	v_sub_nc_u32_e32 v5, v4, v5
	s_delay_alu instid0(VALU_DEP_3) | instskip(SKIP_1) | instid1(VALU_DEP_3)
	v_xor_b32_e32 v1, 0x7fffffff, v7
	v_dual_sub_nc_u32 v26, 0, v7 :: v_dual_add_nc_u32 v4, -1, v4
	v_mul_lo_u32 v5, 0xbc8f, v5
	s_delay_alu instid0(VALU_DEP_2) | instskip(NEXT) | instid1(VALU_DEP_2)
	v_cvt_f32_u32_e32 v4, v4
	v_cmp_lt_u32_e32 vcc_lo, v5, v7
	s_delay_alu instid0(VALU_DEP_4) | instskip(NEXT) | instid1(VALU_DEP_1)
	v_dual_add_nc_u32 v3, -1, v3 :: v_dual_cndmask_b32 v1, v26, v1, vcc_lo
	v_cvt_f32_u32_e32 v3, v3
	s_delay_alu instid0(VALU_DEP_2) | instskip(NEXT) | instid1(VALU_DEP_2)
	v_add_nc_u32_e32 v1, v1, v5
	v_pk_fma_f32 v[2:3], v[2:3], s[2:3], 0 op_sel_hi:[1,0,0]
	s_delay_alu instid0(VALU_DEP_1) | instskip(NEXT) | instid1(VALU_DEP_1)
	v_pk_mul_f32 v[2:3], v[2:3], v[2:3]
	v_dual_add_nc_u32 v5, -1, v1 :: v_dual_add_f32 v7, v2, v3
	s_delay_alu instid0(VALU_DEP_1) | instskip(NEXT) | instid1(VALU_DEP_2)
	v_cvt_f32_u32_e32 v5, v5
	v_cmp_gt_f32_e32 vcc_lo, 0xf800000, v7
	s_delay_alu instid0(VALU_DEP_2) | instskip(SKIP_1) | instid1(SALU_CYCLE_1)
	v_pk_fma_f32 v[2:3], v[4:5], s[2:3], 0 op_sel_hi:[1,0,0]
	s_add_co_i32 s3, s3, -2
	s_cmp_lg_u32 s3, 0
	s_delay_alu instid0(VALU_DEP_1) | instskip(NEXT) | instid1(VALU_DEP_1)
	v_pk_mul_f32 v[2:3], v[2:3], v[2:3]
	v_add_f32_e32 v2, v2, v3
	s_delay_alu instid0(VALU_DEP_1) | instskip(NEXT) | instid1(VALU_DEP_1)
	v_dual_mul_f32 v4, 0x4f800000, v7 :: v_dual_mul_f32 v5, 0x4f800000, v2
	v_cndmask_b32_e32 v4, v7, v4, vcc_lo
	v_cmp_gt_f32_e64 s0, 0xf800000, v2
	s_delay_alu instid0(VALU_DEP_2) | instskip(SKIP_1) | instid1(TRANS32_DEP_1)
	v_sqrt_f32_e32 v3, v4
	v_nop
	v_dual_add_nc_u32 v7, -1, v3 :: v_dual_cndmask_b32 v2, v2, v5, s0
	s_delay_alu instid0(VALU_DEP_1) | instskip(NEXT) | instid1(VALU_DEP_2)
	v_dual_add_nc_u32 v5, 1, v3 :: v_dual_fma_f32 v26, -v7, v3, v4
	v_sqrt_f32_e32 v27, v2
	s_delay_alu instid0(VALU_DEP_1) | instskip(NEXT) | instid1(VALU_DEP_2)
	v_fma_f32 v28, -v5, v3, v4
	v_cmp_ge_f32_e64 s1, 0, v26
	s_delay_alu instid0(VALU_DEP_1) | instskip(NEXT) | instid1(VALU_DEP_3)
	v_cndmask_b32_e64 v3, v3, v7, s1
	v_cmp_lt_f32_e64 s1, 0, v28
	s_delay_alu instid0(TRANS32_DEP_1) | instid1(VALU_DEP_1)
	v_dual_add_nc_u32 v7, -1, v27 :: v_dual_cndmask_b32 v3, v3, v5, s1
	s_delay_alu instid0(VALU_DEP_1) | instskip(NEXT) | instid1(VALU_DEP_2)
	v_dual_add_nc_u32 v5, 1, v27 :: v_dual_fma_f32 v26, -v7, v27, v2
	v_mul_f32_e32 v28, 0x37800000, v3
	s_delay_alu instid0(VALU_DEP_2) | instskip(NEXT) | instid1(VALU_DEP_3)
	v_fma_f32 v29, -v5, v27, v2
	v_cmp_ge_f32_e64 s1, 0, v26
	s_delay_alu instid0(VALU_DEP_3) | instskip(SKIP_1) | instid1(VALU_DEP_2)
	v_cndmask_b32_e32 v3, v3, v28, vcc_lo
	v_cmp_class_f32_e64 vcc_lo, v4, 0x260
	v_cndmask_b32_e32 v3, v3, v4, vcc_lo
	s_delay_alu instid0(VALU_DEP_1) | instskip(SKIP_4) | instid1(VALU_DEP_3)
	v_cmp_nge_f32_e32 vcc_lo, 1.0, v3
	v_cndmask_b32_e64 v7, v27, v7, s1
	v_cmp_lt_f32_e64 s1, 0, v29
	v_cndmask_b32_e32 v3, v6, v25, vcc_lo
	v_cmp_class_f32_e64 vcc_lo, v2, 0x260
	v_cndmask_b32_e64 v5, v7, v5, s1
	s_delay_alu instid0(VALU_DEP_1) | instskip(NEXT) | instid1(VALU_DEP_1)
	v_mul_f32_e32 v4, 0x37800000, v5
	v_dual_cndmask_b32 v4, v5, v4, s0 :: v_dual_add_f32 v5, 1.0, v3
	s_delay_alu instid0(VALU_DEP_1) | instskip(NEXT) | instid1(VALU_DEP_1)
	v_cndmask_b32_e32 v2, v4, v2, vcc_lo
	v_cmp_nge_f32_e32 vcc_lo, 1.0, v2
	s_delay_alu instid0(VALU_DEP_3)
	v_cndmask_b32_e32 v25, v5, v3, vcc_lo
	s_cbranch_scc1 .LBB27_477
; %bb.478:
	v_dual_mov_b32 v1, 1 :: v_dual_add_nc_u32 v2, 0x15f9000, v0
	s_mov_b32 s1, 0
	s_mov_b32 s12, exec_lo
	s_delay_alu instid0(VALU_DEP_1)
	v_cmpx_ne_u32_e32 0, v2
	s_cbranch_execz .LBB27_484
; %bb.479:
	v_mov_b32_e32 v3, 0
	v_mov_b64_e32 v[6:7], 1
	s_mov_b64 s[8:9], 0xbc8f
	s_mov_b64 s[2:3], 0xfffffffd
	;; [unrolled: 1-line block ×3, first 2 shown]
	v_mov_b64_e32 v[4:5], v[2:3]
	s_mov_b64 s[6:7], 0x80000001
	s_mov_b32 s13, 0
	s_branch .LBB27_481
.LBB27_480:                             ;   in Loop: Header=BB27_481 Depth=1
	s_or_b32 exec_lo, exec_lo, s0
	s_mul_u64 s[8:9], s[8:9], s[8:9]
	s_mov_b32 s15, s1
	s_and_b64 s[16:17], s[8:9], s[2:3]
	s_mov_b32 s0, s9
	s_mul_u64 s[18:19], s[16:17], 3
	s_mul_u64 s[20:21], s[0:1], 3
	s_mov_b32 s14, s19
	s_mul_u64 s[16:17], s[16:17], s[6:7]
	s_add_nc_u64 s[14:15], s[20:21], s[14:15]
	v_lshrrev_b64 v[26:27], 1, v[4:5]
	s_and_b64 s[20:21], s[14:15], s[4:5]
	s_mov_b32 s19, s1
	s_add_nc_u64 s[16:17], s[16:17], s[20:21]
	s_mov_b32 s23, s1
	s_mov_b32 s18, s15
	;; [unrolled: 1-line block ×3, first 2 shown]
	s_mul_u64 s[16:17], s[0:1], s[6:7]
	s_add_nc_u64 s[14:15], s[18:19], s[22:23]
	v_cmp_gt_u64_e32 vcc_lo, 2, v[4:5]
	s_add_nc_u64 s[14:15], s[16:17], s[14:15]
	v_mov_b64_e32 v[4:5], v[26:27]
	s_lshr_b64 s[14:15], s[14:15], 30
	s_delay_alu instid0(SALU_CYCLE_1)
	s_mul_u64 s[14:15], s[14:15], 0x7fffffff
	s_or_b32 s13, vcc_lo, s13
	s_sub_nc_u64 s[8:9], s[8:9], s[14:15]
	s_and_not1_b32 exec_lo, exec_lo, s13
	s_cbranch_execz .LBB27_483
.LBB27_481:                             ; =>This Inner Loop Header: Depth=1
	s_delay_alu instid0(VALU_DEP_1) | instskip(SKIP_1) | instid1(VALU_DEP_1)
	v_and_b32_e32 v1, 1, v4
	s_mov_b32 s0, exec_lo
	v_cmpx_eq_u32_e32 1, v1
	s_cbranch_execz .LBB27_480
; %bb.482:                              ;   in Loop: Header=BB27_481 Depth=1
	v_mul_u64_e32 v[6:7], s[8:9], v[6:7]
	s_delay_alu instid0(VALU_DEP_1) | instskip(NEXT) | instid1(VALU_DEP_1)
	v_mov_b32_e32 v2, v6
	v_mul_u64_e32 v[26:27], 5, v[2:3]
	s_delay_alu instid0(VALU_DEP_1) | instskip(NEXT) | instid1(VALU_DEP_1)
	v_mov_b32_e32 v2, v27
	v_mad_nc_u64_u32 v[26:27], v7, 5, v[2:3]
	s_delay_alu instid0(VALU_DEP_1) | instskip(NEXT) | instid1(VALU_DEP_1)
	v_dual_mov_b32 v2, v27 :: v_dual_mov_b32 v27, v3
	v_mad_nc_u64_u32 v[26:27], v6, 2, v[26:27]
	s_delay_alu instid0(VALU_DEP_1) | instskip(NEXT) | instid1(VALU_DEP_1)
	v_dual_mov_b32 v26, v27 :: v_dual_mov_b32 v27, v3
	v_add_nc_u64_e32 v[26:27], v[2:3], v[26:27]
	s_delay_alu instid0(VALU_DEP_1) | instskip(NEXT) | instid1(VALU_DEP_1)
	v_mad_nc_u64_u32 v[26:27], v7, 2, v[26:27]
	v_sub_nc_u64_e32 v[28:29], v[6:7], v[26:27]
	s_delay_alu instid0(VALU_DEP_1) | instskip(NEXT) | instid1(VALU_DEP_1)
	v_lshrrev_b64 v[28:29], 1, v[28:29]
	v_add_nc_u64_e32 v[26:27], v[28:29], v[26:27]
	s_delay_alu instid0(VALU_DEP_1) | instskip(NEXT) | instid1(VALU_DEP_1)
	v_lshrrev_b64 v[26:27], 30, v[26:27]
	v_mul_u64_e32 v[26:27], 0x7fffffff, v[26:27]
	s_delay_alu instid0(VALU_DEP_1)
	v_sub_nc_u64_e32 v[6:7], v[6:7], v[26:27]
	s_branch .LBB27_480
.LBB27_483:
	s_or_b32 exec_lo, exec_lo, s13
	v_add_min_u32_e64 v1, 0x80000001, v6, v6
	s_delay_alu instid0(VALU_DEP_1)
	v_add_min_u32_e64 v1, 0x80000001, v1, v1
.LBB27_484:
	s_or_b32 exec_lo, exec_lo, s12
	v_mov_b32_e32 v26, 0
	s_movk_i32 s3, 0x1388
	s_brev_b32 s2, 12
.LBB27_485:                             ; =>This Inner Loop Header: Depth=1
	v_mul_hi_u32 v2, 0xbc8f1391, v1
	s_delay_alu instid0(VALU_DEP_1) | instskip(NEXT) | instid1(VALU_DEP_1)
	v_lshrrev_b32_e32 v2, 15, v2
	v_mul_u32_u24_e32 v3, 0xadc8, v2
	s_delay_alu instid0(VALU_DEP_1) | instskip(SKIP_1) | instid1(VALU_DEP_2)
	v_sub_nc_u32_e32 v1, v1, v3
	v_mul_u32_u24_e32 v2, 0xd47, v2
	v_mul_lo_u32 v1, 0xbc8f, v1
	s_delay_alu instid0(VALU_DEP_2) | instskip(SKIP_1) | instid1(VALU_DEP_3)
	v_xor_b32_e32 v3, 0x7fffffff, v2
	v_sub_nc_u32_e32 v4, 0, v2
	v_cmp_lt_u32_e32 vcc_lo, v1, v2
	s_delay_alu instid0(VALU_DEP_2) | instskip(NEXT) | instid1(VALU_DEP_1)
	v_cndmask_b32_e32 v2, v4, v3, vcc_lo
	v_add_nc_u32_e32 v1, v2, v1
	s_delay_alu instid0(VALU_DEP_1) | instskip(NEXT) | instid1(VALU_DEP_1)
	v_mul_hi_u32 v2, 0xbc8f1391, v1
	v_lshrrev_b32_e32 v2, 15, v2
	s_delay_alu instid0(VALU_DEP_1) | instskip(SKIP_1) | instid1(VALU_DEP_2)
	v_mul_u32_u24_e32 v3, 0xadc8, v2
	v_mul_u32_u24_e32 v2, 0xd47, v2
	v_sub_nc_u32_e32 v3, v1, v3
	s_delay_alu instid0(VALU_DEP_2) | instskip(SKIP_1) | instid1(VALU_DEP_3)
	v_xor_b32_e32 v4, 0x7fffffff, v2
	v_add_nc_u32_e32 v1, -1, v1
	v_mul_lo_u32 v3, 0xbc8f, v3
	v_sub_nc_u32_e32 v5, 0, v2
	s_delay_alu instid0(VALU_DEP_2) | instskip(NEXT) | instid1(VALU_DEP_2)
	v_cmp_lt_u32_e32 vcc_lo, v3, v2
	v_cndmask_b32_e32 v2, v5, v4, vcc_lo
	s_delay_alu instid0(VALU_DEP_1) | instskip(NEXT) | instid1(VALU_DEP_1)
	v_add_nc_u32_e32 v3, v2, v3
	v_mul_hi_u32 v2, 0xbc8f1391, v3
	s_delay_alu instid0(VALU_DEP_1) | instskip(NEXT) | instid1(VALU_DEP_1)
	v_lshrrev_b32_e32 v2, 15, v2
	v_mul_u32_u24_e32 v4, 0xadc8, v2
	v_mul_u32_u24_e32 v2, 0xd47, v2
	s_delay_alu instid0(VALU_DEP_2) | instskip(NEXT) | instid1(VALU_DEP_2)
	v_sub_nc_u32_e32 v4, v3, v4
	v_xor_b32_e32 v5, 0x7fffffff, v2
	s_delay_alu instid0(VALU_DEP_2) | instskip(SKIP_1) | instid1(VALU_DEP_2)
	v_mul_lo_u32 v4, 0xbc8f, v4
	v_sub_nc_u32_e32 v6, 0, v2
	v_cmp_lt_u32_e32 vcc_lo, v4, v2
	s_delay_alu instid0(VALU_DEP_2) | instskip(NEXT) | instid1(VALU_DEP_1)
	v_dual_cndmask_b32 v2, v6, v5, vcc_lo :: v_dual_add_f32 v6, 1.0, v26
	v_add_nc_u32_e32 v4, v2, v4
	s_delay_alu instid0(VALU_DEP_1) | instskip(NEXT) | instid1(VALU_DEP_1)
	v_mul_hi_u32 v2, 0xbc8f1391, v4
	v_lshrrev_b32_e32 v2, 15, v2
	s_delay_alu instid0(VALU_DEP_1) | instskip(SKIP_2) | instid1(VALU_DEP_3)
	v_mul_u32_u24_e32 v5, 0xadc8, v2
	v_mul_u32_u24_e32 v7, 0xd47, v2
	v_cvt_f32_u32_e32 v2, v1
	v_sub_nc_u32_e32 v5, v4, v5
	s_delay_alu instid0(VALU_DEP_3) | instskip(SKIP_1) | instid1(VALU_DEP_3)
	v_xor_b32_e32 v1, 0x7fffffff, v7
	v_dual_sub_nc_u32 v27, 0, v7 :: v_dual_add_nc_u32 v4, -1, v4
	v_mul_lo_u32 v5, 0xbc8f, v5
	s_delay_alu instid0(VALU_DEP_2) | instskip(NEXT) | instid1(VALU_DEP_2)
	v_cvt_f32_u32_e32 v4, v4
	v_cmp_lt_u32_e32 vcc_lo, v5, v7
	s_delay_alu instid0(VALU_DEP_4) | instskip(NEXT) | instid1(VALU_DEP_1)
	v_dual_add_nc_u32 v3, -1, v3 :: v_dual_cndmask_b32 v1, v27, v1, vcc_lo
	v_cvt_f32_u32_e32 v3, v3
	s_delay_alu instid0(VALU_DEP_2) | instskip(NEXT) | instid1(VALU_DEP_2)
	v_add_nc_u32_e32 v1, v1, v5
	v_pk_fma_f32 v[2:3], v[2:3], s[2:3], 0 op_sel_hi:[1,0,0]
	s_delay_alu instid0(VALU_DEP_1) | instskip(NEXT) | instid1(VALU_DEP_1)
	v_pk_mul_f32 v[2:3], v[2:3], v[2:3]
	v_dual_add_nc_u32 v5, -1, v1 :: v_dual_add_f32 v7, v2, v3
	s_delay_alu instid0(VALU_DEP_1) | instskip(NEXT) | instid1(VALU_DEP_2)
	v_cvt_f32_u32_e32 v5, v5
	v_cmp_gt_f32_e32 vcc_lo, 0xf800000, v7
	s_delay_alu instid0(VALU_DEP_2) | instskip(SKIP_1) | instid1(SALU_CYCLE_1)
	v_pk_fma_f32 v[2:3], v[4:5], s[2:3], 0 op_sel_hi:[1,0,0]
	s_add_co_i32 s3, s3, -2
	s_cmp_lg_u32 s3, 0
	s_delay_alu instid0(VALU_DEP_1) | instskip(NEXT) | instid1(VALU_DEP_1)
	v_pk_mul_f32 v[2:3], v[2:3], v[2:3]
	v_add_f32_e32 v2, v2, v3
	s_delay_alu instid0(VALU_DEP_1) | instskip(NEXT) | instid1(VALU_DEP_1)
	v_dual_mul_f32 v4, 0x4f800000, v7 :: v_dual_mul_f32 v5, 0x4f800000, v2
	v_cndmask_b32_e32 v4, v7, v4, vcc_lo
	v_cmp_gt_f32_e64 s0, 0xf800000, v2
	s_delay_alu instid0(VALU_DEP_2) | instskip(SKIP_1) | instid1(TRANS32_DEP_1)
	v_sqrt_f32_e32 v3, v4
	v_nop
	v_dual_add_nc_u32 v7, -1, v3 :: v_dual_cndmask_b32 v2, v2, v5, s0
	s_delay_alu instid0(VALU_DEP_1) | instskip(NEXT) | instid1(VALU_DEP_2)
	v_dual_add_nc_u32 v5, 1, v3 :: v_dual_fma_f32 v27, -v7, v3, v4
	v_sqrt_f32_e32 v28, v2
	s_delay_alu instid0(VALU_DEP_1) | instskip(NEXT) | instid1(VALU_DEP_2)
	v_fma_f32 v29, -v5, v3, v4
	v_cmp_ge_f32_e64 s1, 0, v27
	s_delay_alu instid0(TRANS32_DEP_1) | instid1(VALU_DEP_1)
	v_dual_cndmask_b32 v3, v3, v7, s1 :: v_dual_add_nc_u32 v7, -1, v28
	s_delay_alu instid0(VALU_DEP_3) | instskip(NEXT) | instid1(VALU_DEP_2)
	v_cmp_lt_f32_e64 s1, 0, v29
	v_fma_f32 v27, -v7, v28, v2
	s_delay_alu instid0(VALU_DEP_2) | instskip(NEXT) | instid1(VALU_DEP_2)
	v_dual_cndmask_b32 v3, v3, v5, s1 :: v_dual_add_nc_u32 v5, 1, v28
	v_cmp_ge_f32_e64 s1, 0, v27
	s_delay_alu instid0(VALU_DEP_1) | instskip(NEXT) | instid1(VALU_DEP_1)
	v_dual_fma_f32 v30, -v5, v28, v2 :: v_dual_cndmask_b32 v7, v28, v7, s1
	v_cmp_lt_f32_e64 s1, 0, v30
	s_delay_alu instid0(VALU_DEP_1) | instskip(SKIP_1) | instid1(VALU_DEP_1)
	v_cndmask_b32_e64 v5, v7, v5, s1
	v_mul_f32_e32 v29, 0x37800000, v3
	v_cndmask_b32_e32 v3, v3, v29, vcc_lo
	v_cmp_class_f32_e64 vcc_lo, v4, 0x260
	s_delay_alu instid0(VALU_DEP_2) | instskip(NEXT) | instid1(VALU_DEP_1)
	v_cndmask_b32_e32 v3, v3, v4, vcc_lo
	v_cmp_nge_f32_e32 vcc_lo, 1.0, v3
	v_dual_cndmask_b32 v3, v6, v26 :: v_dual_mul_f32 v4, 0x37800000, v5
	v_cmp_class_f32_e64 vcc_lo, v2, 0x260
	s_delay_alu instid0(VALU_DEP_2) | instskip(NEXT) | instid1(VALU_DEP_1)
	v_dual_cndmask_b32 v4, v5, v4, s0 :: v_dual_add_f32 v5, 1.0, v3
	v_cndmask_b32_e32 v2, v4, v2, vcc_lo
	s_delay_alu instid0(VALU_DEP_1) | instskip(NEXT) | instid1(VALU_DEP_3)
	v_cmp_nge_f32_e32 vcc_lo, 1.0, v2
	v_cndmask_b32_e32 v26, v5, v3, vcc_lo
	s_cbranch_scc1 .LBB27_485
; %bb.486:
	v_dual_mov_b32 v1, 1 :: v_dual_add_nc_u32 v2, 0x1731800, v0
	s_mov_b32 s1, 0
	s_mov_b32 s12, exec_lo
	s_delay_alu instid0(VALU_DEP_1)
	v_cmpx_ne_u32_e32 0, v2
	s_cbranch_execz .LBB27_492
; %bb.487:
	v_mov_b32_e32 v3, 0
	v_mov_b64_e32 v[6:7], 1
	s_mov_b64 s[8:9], 0xbc8f
	s_mov_b64 s[2:3], 0xfffffffd
	;; [unrolled: 1-line block ×3, first 2 shown]
	v_mov_b64_e32 v[4:5], v[2:3]
	s_mov_b64 s[6:7], 0x80000001
	s_mov_b32 s13, 0
	s_branch .LBB27_489
.LBB27_488:                             ;   in Loop: Header=BB27_489 Depth=1
	s_or_b32 exec_lo, exec_lo, s0
	s_mul_u64 s[8:9], s[8:9], s[8:9]
	s_mov_b32 s15, s1
	s_and_b64 s[16:17], s[8:9], s[2:3]
	s_mov_b32 s0, s9
	s_mul_u64 s[18:19], s[16:17], 3
	s_mul_u64 s[20:21], s[0:1], 3
	s_mov_b32 s14, s19
	s_mul_u64 s[16:17], s[16:17], s[6:7]
	s_add_nc_u64 s[14:15], s[20:21], s[14:15]
	v_lshrrev_b64 v[28:29], 1, v[4:5]
	s_and_b64 s[20:21], s[14:15], s[4:5]
	s_mov_b32 s19, s1
	s_add_nc_u64 s[16:17], s[16:17], s[20:21]
	s_mov_b32 s23, s1
	s_mov_b32 s18, s15
	;; [unrolled: 1-line block ×3, first 2 shown]
	s_mul_u64 s[16:17], s[0:1], s[6:7]
	s_add_nc_u64 s[14:15], s[18:19], s[22:23]
	v_cmp_gt_u64_e32 vcc_lo, 2, v[4:5]
	s_add_nc_u64 s[14:15], s[16:17], s[14:15]
	v_mov_b64_e32 v[4:5], v[28:29]
	s_lshr_b64 s[14:15], s[14:15], 30
	s_delay_alu instid0(SALU_CYCLE_1)
	s_mul_u64 s[14:15], s[14:15], 0x7fffffff
	s_or_b32 s13, vcc_lo, s13
	s_sub_nc_u64 s[8:9], s[8:9], s[14:15]
	s_and_not1_b32 exec_lo, exec_lo, s13
	s_cbranch_execz .LBB27_491
.LBB27_489:                             ; =>This Inner Loop Header: Depth=1
	s_delay_alu instid0(VALU_DEP_1) | instskip(SKIP_1) | instid1(VALU_DEP_1)
	v_and_b32_e32 v1, 1, v4
	s_mov_b32 s0, exec_lo
	v_cmpx_eq_u32_e32 1, v1
	s_cbranch_execz .LBB27_488
; %bb.490:                              ;   in Loop: Header=BB27_489 Depth=1
	v_mul_u64_e32 v[6:7], s[8:9], v[6:7]
	s_delay_alu instid0(VALU_DEP_1) | instskip(NEXT) | instid1(VALU_DEP_1)
	v_mov_b32_e32 v2, v6
	v_mul_u64_e32 v[28:29], 5, v[2:3]
	s_delay_alu instid0(VALU_DEP_1) | instskip(NEXT) | instid1(VALU_DEP_1)
	v_mov_b32_e32 v2, v29
	v_mad_nc_u64_u32 v[28:29], v7, 5, v[2:3]
	s_delay_alu instid0(VALU_DEP_1) | instskip(NEXT) | instid1(VALU_DEP_1)
	v_dual_mov_b32 v2, v29 :: v_dual_mov_b32 v29, v3
	v_mad_nc_u64_u32 v[28:29], v6, 2, v[28:29]
	s_delay_alu instid0(VALU_DEP_1) | instskip(NEXT) | instid1(VALU_DEP_1)
	v_dual_mov_b32 v28, v29 :: v_dual_mov_b32 v29, v3
	v_add_nc_u64_e32 v[28:29], v[2:3], v[28:29]
	s_delay_alu instid0(VALU_DEP_1) | instskip(NEXT) | instid1(VALU_DEP_1)
	v_mad_nc_u64_u32 v[28:29], v7, 2, v[28:29]
	v_sub_nc_u64_e32 v[30:31], v[6:7], v[28:29]
	s_delay_alu instid0(VALU_DEP_1) | instskip(NEXT) | instid1(VALU_DEP_1)
	v_lshrrev_b64 v[30:31], 1, v[30:31]
	v_add_nc_u64_e32 v[28:29], v[30:31], v[28:29]
	s_delay_alu instid0(VALU_DEP_1) | instskip(NEXT) | instid1(VALU_DEP_1)
	v_lshrrev_b64 v[28:29], 30, v[28:29]
	v_mul_u64_e32 v[28:29], 0x7fffffff, v[28:29]
	s_delay_alu instid0(VALU_DEP_1)
	v_sub_nc_u64_e32 v[6:7], v[6:7], v[28:29]
	s_branch .LBB27_488
.LBB27_491:
	s_or_b32 exec_lo, exec_lo, s13
	v_add_min_u32_e64 v1, 0x80000001, v6, v6
	s_delay_alu instid0(VALU_DEP_1)
	v_add_min_u32_e64 v1, 0x80000001, v1, v1
.LBB27_492:
	s_or_b32 exec_lo, exec_lo, s12
	v_mov_b32_e32 v27, 0
	s_movk_i32 s3, 0x1388
	s_brev_b32 s2, 12
.LBB27_493:                             ; =>This Inner Loop Header: Depth=1
	v_mul_hi_u32 v2, 0xbc8f1391, v1
	s_delay_alu instid0(VALU_DEP_1) | instskip(NEXT) | instid1(VALU_DEP_1)
	v_lshrrev_b32_e32 v2, 15, v2
	v_mul_u32_u24_e32 v3, 0xadc8, v2
	s_delay_alu instid0(VALU_DEP_1) | instskip(SKIP_1) | instid1(VALU_DEP_2)
	v_sub_nc_u32_e32 v1, v1, v3
	v_mul_u32_u24_e32 v2, 0xd47, v2
	v_mul_lo_u32 v1, 0xbc8f, v1
	s_delay_alu instid0(VALU_DEP_2) | instskip(SKIP_1) | instid1(VALU_DEP_3)
	v_xor_b32_e32 v3, 0x7fffffff, v2
	v_sub_nc_u32_e32 v4, 0, v2
	v_cmp_lt_u32_e32 vcc_lo, v1, v2
	s_delay_alu instid0(VALU_DEP_2) | instskip(NEXT) | instid1(VALU_DEP_1)
	v_cndmask_b32_e32 v2, v4, v3, vcc_lo
	v_add_nc_u32_e32 v1, v2, v1
	s_delay_alu instid0(VALU_DEP_1) | instskip(NEXT) | instid1(VALU_DEP_1)
	v_mul_hi_u32 v2, 0xbc8f1391, v1
	v_lshrrev_b32_e32 v2, 15, v2
	s_delay_alu instid0(VALU_DEP_1) | instskip(SKIP_1) | instid1(VALU_DEP_2)
	v_mul_u32_u24_e32 v3, 0xadc8, v2
	v_mul_u32_u24_e32 v2, 0xd47, v2
	v_sub_nc_u32_e32 v3, v1, v3
	s_delay_alu instid0(VALU_DEP_2) | instskip(SKIP_1) | instid1(VALU_DEP_3)
	v_xor_b32_e32 v4, 0x7fffffff, v2
	v_add_nc_u32_e32 v1, -1, v1
	v_mul_lo_u32 v3, 0xbc8f, v3
	v_sub_nc_u32_e32 v5, 0, v2
	s_delay_alu instid0(VALU_DEP_2) | instskip(NEXT) | instid1(VALU_DEP_2)
	v_cmp_lt_u32_e32 vcc_lo, v3, v2
	v_cndmask_b32_e32 v2, v5, v4, vcc_lo
	s_delay_alu instid0(VALU_DEP_1) | instskip(NEXT) | instid1(VALU_DEP_1)
	v_add_nc_u32_e32 v3, v2, v3
	v_mul_hi_u32 v2, 0xbc8f1391, v3
	s_delay_alu instid0(VALU_DEP_1) | instskip(NEXT) | instid1(VALU_DEP_1)
	v_lshrrev_b32_e32 v2, 15, v2
	v_mul_u32_u24_e32 v4, 0xadc8, v2
	v_mul_u32_u24_e32 v2, 0xd47, v2
	s_delay_alu instid0(VALU_DEP_2) | instskip(NEXT) | instid1(VALU_DEP_2)
	v_sub_nc_u32_e32 v4, v3, v4
	v_xor_b32_e32 v5, 0x7fffffff, v2
	s_delay_alu instid0(VALU_DEP_2) | instskip(SKIP_1) | instid1(VALU_DEP_2)
	v_mul_lo_u32 v4, 0xbc8f, v4
	v_sub_nc_u32_e32 v6, 0, v2
	v_cmp_lt_u32_e32 vcc_lo, v4, v2
	s_delay_alu instid0(VALU_DEP_2) | instskip(NEXT) | instid1(VALU_DEP_1)
	v_dual_cndmask_b32 v2, v6, v5, vcc_lo :: v_dual_add_f32 v6, 1.0, v27
	v_add_nc_u32_e32 v4, v2, v4
	s_delay_alu instid0(VALU_DEP_1) | instskip(NEXT) | instid1(VALU_DEP_1)
	v_mul_hi_u32 v2, 0xbc8f1391, v4
	v_lshrrev_b32_e32 v2, 15, v2
	s_delay_alu instid0(VALU_DEP_1) | instskip(SKIP_2) | instid1(VALU_DEP_3)
	v_mul_u32_u24_e32 v5, 0xadc8, v2
	v_mul_u32_u24_e32 v7, 0xd47, v2
	v_cvt_f32_u32_e32 v2, v1
	v_sub_nc_u32_e32 v5, v4, v5
	s_delay_alu instid0(VALU_DEP_3) | instskip(SKIP_1) | instid1(VALU_DEP_3)
	v_xor_b32_e32 v1, 0x7fffffff, v7
	v_dual_sub_nc_u32 v28, 0, v7 :: v_dual_add_nc_u32 v4, -1, v4
	v_mul_lo_u32 v5, 0xbc8f, v5
	s_delay_alu instid0(VALU_DEP_2) | instskip(NEXT) | instid1(VALU_DEP_2)
	v_cvt_f32_u32_e32 v4, v4
	v_cmp_lt_u32_e32 vcc_lo, v5, v7
	s_delay_alu instid0(VALU_DEP_4) | instskip(NEXT) | instid1(VALU_DEP_1)
	v_dual_add_nc_u32 v3, -1, v3 :: v_dual_cndmask_b32 v1, v28, v1, vcc_lo
	v_cvt_f32_u32_e32 v3, v3
	s_delay_alu instid0(VALU_DEP_2) | instskip(NEXT) | instid1(VALU_DEP_2)
	v_add_nc_u32_e32 v1, v1, v5
	v_pk_fma_f32 v[2:3], v[2:3], s[2:3], 0 op_sel_hi:[1,0,0]
	s_delay_alu instid0(VALU_DEP_1) | instskip(NEXT) | instid1(VALU_DEP_1)
	v_pk_mul_f32 v[2:3], v[2:3], v[2:3]
	v_dual_add_nc_u32 v5, -1, v1 :: v_dual_add_f32 v7, v2, v3
	s_delay_alu instid0(VALU_DEP_1) | instskip(NEXT) | instid1(VALU_DEP_2)
	v_cvt_f32_u32_e32 v5, v5
	v_cmp_gt_f32_e32 vcc_lo, 0xf800000, v7
	s_delay_alu instid0(VALU_DEP_2) | instskip(SKIP_1) | instid1(SALU_CYCLE_1)
	v_pk_fma_f32 v[2:3], v[4:5], s[2:3], 0 op_sel_hi:[1,0,0]
	s_add_co_i32 s3, s3, -2
	s_cmp_lg_u32 s3, 0
	s_delay_alu instid0(VALU_DEP_1) | instskip(NEXT) | instid1(VALU_DEP_1)
	v_pk_mul_f32 v[2:3], v[2:3], v[2:3]
	v_add_f32_e32 v2, v2, v3
	s_delay_alu instid0(VALU_DEP_1) | instskip(NEXT) | instid1(VALU_DEP_1)
	v_dual_mul_f32 v4, 0x4f800000, v7 :: v_dual_mul_f32 v5, 0x4f800000, v2
	v_cndmask_b32_e32 v4, v7, v4, vcc_lo
	v_cmp_gt_f32_e64 s0, 0xf800000, v2
	s_delay_alu instid0(VALU_DEP_2) | instskip(SKIP_1) | instid1(TRANS32_DEP_1)
	v_sqrt_f32_e32 v3, v4
	v_nop
	v_dual_add_nc_u32 v7, -1, v3 :: v_dual_cndmask_b32 v2, v2, v5, s0
	s_delay_alu instid0(VALU_DEP_1) | instskip(NEXT) | instid1(VALU_DEP_2)
	v_dual_add_nc_u32 v5, 1, v3 :: v_dual_fma_f32 v28, -v7, v3, v4
	v_sqrt_f32_e32 v29, v2
	s_delay_alu instid0(VALU_DEP_1) | instskip(NEXT) | instid1(VALU_DEP_2)
	v_fma_f32 v30, -v5, v3, v4
	v_cmp_ge_f32_e64 s1, 0, v28
	s_delay_alu instid0(TRANS32_DEP_1) | instid1(VALU_DEP_1)
	v_dual_cndmask_b32 v3, v3, v7, s1 :: v_dual_add_nc_u32 v7, -1, v29
	s_delay_alu instid0(VALU_DEP_3) | instskip(NEXT) | instid1(VALU_DEP_1)
	v_cmp_lt_f32_e64 s1, 0, v30
	v_cndmask_b32_e64 v3, v3, v5, s1
	s_delay_alu instid0(VALU_DEP_3) | instskip(NEXT) | instid1(VALU_DEP_1)
	v_dual_add_nc_u32 v5, 1, v29 :: v_dual_fma_f32 v28, -v7, v29, v2
	v_fma_f32 v31, -v5, v29, v2
	s_delay_alu instid0(VALU_DEP_2) | instskip(NEXT) | instid1(VALU_DEP_1)
	v_cmp_ge_f32_e64 s1, 0, v28
	v_cndmask_b32_e64 v7, v29, v7, s1
	v_mul_f32_e32 v30, 0x37800000, v3
	s_delay_alu instid0(VALU_DEP_4) | instskip(NEXT) | instid1(VALU_DEP_1)
	v_cmp_lt_f32_e64 s1, 0, v31
	v_cndmask_b32_e64 v5, v7, v5, s1
	s_delay_alu instid0(VALU_DEP_3) | instskip(SKIP_1) | instid1(VALU_DEP_2)
	v_cndmask_b32_e32 v3, v3, v30, vcc_lo
	v_cmp_class_f32_e64 vcc_lo, v4, 0x260
	v_cndmask_b32_e32 v3, v3, v4, vcc_lo
	s_delay_alu instid0(VALU_DEP_1) | instskip(SKIP_2) | instid1(VALU_DEP_2)
	v_cmp_nge_f32_e32 vcc_lo, 1.0, v3
	v_dual_cndmask_b32 v3, v6, v27 :: v_dual_mul_f32 v4, 0x37800000, v5
	v_cmp_class_f32_e64 vcc_lo, v2, 0x260
	v_dual_cndmask_b32 v4, v5, v4, s0 :: v_dual_add_f32 v5, 1.0, v3
	s_delay_alu instid0(VALU_DEP_1) | instskip(NEXT) | instid1(VALU_DEP_1)
	v_cndmask_b32_e32 v2, v4, v2, vcc_lo
	v_cmp_nge_f32_e32 vcc_lo, 1.0, v2
	s_delay_alu instid0(VALU_DEP_3)
	v_cndmask_b32_e32 v27, v5, v3, vcc_lo
	s_cbranch_scc1 .LBB27_493
; %bb.494:
	v_dual_mov_b32 v1, 1 :: v_dual_add_nc_u32 v2, 0x186a000, v0
	s_mov_b32 s1, 0
	s_mov_b32 s12, exec_lo
	s_delay_alu instid0(VALU_DEP_1)
	v_cmpx_ne_u32_e32 0, v2
	s_cbranch_execz .LBB27_500
; %bb.495:
	v_mov_b32_e32 v3, 0
	v_mov_b64_e32 v[6:7], 1
	s_mov_b64 s[8:9], 0xbc8f
	s_mov_b64 s[2:3], 0xfffffffd
	;; [unrolled: 1-line block ×3, first 2 shown]
	v_mov_b64_e32 v[4:5], v[2:3]
	s_mov_b64 s[6:7], 0x80000001
	s_mov_b32 s13, 0
	s_branch .LBB27_497
.LBB27_496:                             ;   in Loop: Header=BB27_497 Depth=1
	s_or_b32 exec_lo, exec_lo, s0
	s_mul_u64 s[8:9], s[8:9], s[8:9]
	s_mov_b32 s15, s1
	s_and_b64 s[16:17], s[8:9], s[2:3]
	s_mov_b32 s0, s9
	s_mul_u64 s[18:19], s[16:17], 3
	s_mul_u64 s[20:21], s[0:1], 3
	s_mov_b32 s14, s19
	s_mul_u64 s[16:17], s[16:17], s[6:7]
	s_add_nc_u64 s[14:15], s[20:21], s[14:15]
	v_lshrrev_b64 v[28:29], 1, v[4:5]
	s_and_b64 s[20:21], s[14:15], s[4:5]
	s_mov_b32 s19, s1
	s_add_nc_u64 s[16:17], s[16:17], s[20:21]
	s_mov_b32 s23, s1
	s_mov_b32 s18, s15
	;; [unrolled: 1-line block ×3, first 2 shown]
	s_mul_u64 s[16:17], s[0:1], s[6:7]
	s_add_nc_u64 s[14:15], s[18:19], s[22:23]
	v_cmp_gt_u64_e32 vcc_lo, 2, v[4:5]
	s_add_nc_u64 s[14:15], s[16:17], s[14:15]
	v_mov_b64_e32 v[4:5], v[28:29]
	s_lshr_b64 s[14:15], s[14:15], 30
	s_delay_alu instid0(SALU_CYCLE_1)
	s_mul_u64 s[14:15], s[14:15], 0x7fffffff
	s_or_b32 s13, vcc_lo, s13
	s_sub_nc_u64 s[8:9], s[8:9], s[14:15]
	s_and_not1_b32 exec_lo, exec_lo, s13
	s_cbranch_execz .LBB27_499
.LBB27_497:                             ; =>This Inner Loop Header: Depth=1
	s_delay_alu instid0(VALU_DEP_1) | instskip(SKIP_1) | instid1(VALU_DEP_1)
	v_and_b32_e32 v1, 1, v4
	s_mov_b32 s0, exec_lo
	v_cmpx_eq_u32_e32 1, v1
	s_cbranch_execz .LBB27_496
; %bb.498:                              ;   in Loop: Header=BB27_497 Depth=1
	v_mul_u64_e32 v[6:7], s[8:9], v[6:7]
	s_delay_alu instid0(VALU_DEP_1) | instskip(NEXT) | instid1(VALU_DEP_1)
	v_mov_b32_e32 v2, v6
	v_mul_u64_e32 v[28:29], 5, v[2:3]
	s_delay_alu instid0(VALU_DEP_1) | instskip(NEXT) | instid1(VALU_DEP_1)
	v_mov_b32_e32 v2, v29
	v_mad_nc_u64_u32 v[28:29], v7, 5, v[2:3]
	s_delay_alu instid0(VALU_DEP_1) | instskip(NEXT) | instid1(VALU_DEP_1)
	v_dual_mov_b32 v2, v29 :: v_dual_mov_b32 v29, v3
	v_mad_nc_u64_u32 v[28:29], v6, 2, v[28:29]
	s_delay_alu instid0(VALU_DEP_1) | instskip(NEXT) | instid1(VALU_DEP_1)
	v_dual_mov_b32 v28, v29 :: v_dual_mov_b32 v29, v3
	v_add_nc_u64_e32 v[28:29], v[2:3], v[28:29]
	s_delay_alu instid0(VALU_DEP_1) | instskip(NEXT) | instid1(VALU_DEP_1)
	v_mad_nc_u64_u32 v[28:29], v7, 2, v[28:29]
	v_sub_nc_u64_e32 v[30:31], v[6:7], v[28:29]
	s_delay_alu instid0(VALU_DEP_1) | instskip(NEXT) | instid1(VALU_DEP_1)
	v_lshrrev_b64 v[30:31], 1, v[30:31]
	v_add_nc_u64_e32 v[28:29], v[30:31], v[28:29]
	s_delay_alu instid0(VALU_DEP_1) | instskip(NEXT) | instid1(VALU_DEP_1)
	v_lshrrev_b64 v[28:29], 30, v[28:29]
	v_mul_u64_e32 v[28:29], 0x7fffffff, v[28:29]
	s_delay_alu instid0(VALU_DEP_1)
	v_sub_nc_u64_e32 v[6:7], v[6:7], v[28:29]
	s_branch .LBB27_496
.LBB27_499:
	s_or_b32 exec_lo, exec_lo, s13
	v_add_min_u32_e64 v1, 0x80000001, v6, v6
	s_delay_alu instid0(VALU_DEP_1)
	v_add_min_u32_e64 v1, 0x80000001, v1, v1
.LBB27_500:
	s_or_b32 exec_lo, exec_lo, s12
	v_mov_b32_e32 v28, 0
	s_movk_i32 s3, 0x1388
	s_brev_b32 s2, 12
.LBB27_501:                             ; =>This Inner Loop Header: Depth=1
	v_mul_hi_u32 v2, 0xbc8f1391, v1
	s_delay_alu instid0(VALU_DEP_1) | instskip(NEXT) | instid1(VALU_DEP_1)
	v_lshrrev_b32_e32 v2, 15, v2
	v_mul_u32_u24_e32 v3, 0xadc8, v2
	s_delay_alu instid0(VALU_DEP_1) | instskip(SKIP_1) | instid1(VALU_DEP_2)
	v_sub_nc_u32_e32 v1, v1, v3
	v_mul_u32_u24_e32 v2, 0xd47, v2
	v_mul_lo_u32 v1, 0xbc8f, v1
	s_delay_alu instid0(VALU_DEP_2) | instskip(SKIP_1) | instid1(VALU_DEP_3)
	v_xor_b32_e32 v3, 0x7fffffff, v2
	v_sub_nc_u32_e32 v4, 0, v2
	v_cmp_lt_u32_e32 vcc_lo, v1, v2
	s_delay_alu instid0(VALU_DEP_2) | instskip(NEXT) | instid1(VALU_DEP_1)
	v_cndmask_b32_e32 v2, v4, v3, vcc_lo
	v_add_nc_u32_e32 v1, v2, v1
	s_delay_alu instid0(VALU_DEP_1) | instskip(NEXT) | instid1(VALU_DEP_1)
	v_mul_hi_u32 v2, 0xbc8f1391, v1
	v_lshrrev_b32_e32 v2, 15, v2
	s_delay_alu instid0(VALU_DEP_1) | instskip(SKIP_1) | instid1(VALU_DEP_2)
	v_mul_u32_u24_e32 v3, 0xadc8, v2
	v_mul_u32_u24_e32 v2, 0xd47, v2
	v_sub_nc_u32_e32 v3, v1, v3
	s_delay_alu instid0(VALU_DEP_2) | instskip(SKIP_1) | instid1(VALU_DEP_3)
	v_xor_b32_e32 v4, 0x7fffffff, v2
	v_add_nc_u32_e32 v1, -1, v1
	v_mul_lo_u32 v3, 0xbc8f, v3
	v_sub_nc_u32_e32 v5, 0, v2
	s_delay_alu instid0(VALU_DEP_2) | instskip(NEXT) | instid1(VALU_DEP_2)
	v_cmp_lt_u32_e32 vcc_lo, v3, v2
	v_cndmask_b32_e32 v2, v5, v4, vcc_lo
	s_delay_alu instid0(VALU_DEP_1) | instskip(NEXT) | instid1(VALU_DEP_1)
	v_add_nc_u32_e32 v3, v2, v3
	v_mul_hi_u32 v2, 0xbc8f1391, v3
	s_delay_alu instid0(VALU_DEP_1) | instskip(NEXT) | instid1(VALU_DEP_1)
	v_lshrrev_b32_e32 v2, 15, v2
	v_mul_u32_u24_e32 v4, 0xadc8, v2
	v_mul_u32_u24_e32 v2, 0xd47, v2
	s_delay_alu instid0(VALU_DEP_2) | instskip(NEXT) | instid1(VALU_DEP_2)
	v_sub_nc_u32_e32 v4, v3, v4
	v_xor_b32_e32 v5, 0x7fffffff, v2
	s_delay_alu instid0(VALU_DEP_2) | instskip(SKIP_1) | instid1(VALU_DEP_2)
	v_mul_lo_u32 v4, 0xbc8f, v4
	v_sub_nc_u32_e32 v6, 0, v2
	v_cmp_lt_u32_e32 vcc_lo, v4, v2
	s_delay_alu instid0(VALU_DEP_2) | instskip(NEXT) | instid1(VALU_DEP_1)
	v_dual_cndmask_b32 v2, v6, v5, vcc_lo :: v_dual_add_f32 v6, 1.0, v28
	v_add_nc_u32_e32 v4, v2, v4
	s_delay_alu instid0(VALU_DEP_1) | instskip(NEXT) | instid1(VALU_DEP_1)
	v_mul_hi_u32 v2, 0xbc8f1391, v4
	v_lshrrev_b32_e32 v2, 15, v2
	s_delay_alu instid0(VALU_DEP_1) | instskip(SKIP_2) | instid1(VALU_DEP_3)
	v_mul_u32_u24_e32 v5, 0xadc8, v2
	v_mul_u32_u24_e32 v7, 0xd47, v2
	v_cvt_f32_u32_e32 v2, v1
	v_sub_nc_u32_e32 v5, v4, v5
	s_delay_alu instid0(VALU_DEP_3) | instskip(SKIP_1) | instid1(VALU_DEP_3)
	v_xor_b32_e32 v1, 0x7fffffff, v7
	v_dual_sub_nc_u32 v29, 0, v7 :: v_dual_add_nc_u32 v4, -1, v4
	v_mul_lo_u32 v5, 0xbc8f, v5
	s_delay_alu instid0(VALU_DEP_2) | instskip(NEXT) | instid1(VALU_DEP_2)
	v_cvt_f32_u32_e32 v4, v4
	v_cmp_lt_u32_e32 vcc_lo, v5, v7
	s_delay_alu instid0(VALU_DEP_4) | instskip(NEXT) | instid1(VALU_DEP_1)
	v_dual_add_nc_u32 v3, -1, v3 :: v_dual_cndmask_b32 v1, v29, v1, vcc_lo
	v_cvt_f32_u32_e32 v3, v3
	s_delay_alu instid0(VALU_DEP_2) | instskip(NEXT) | instid1(VALU_DEP_2)
	v_add_nc_u32_e32 v1, v1, v5
	v_pk_fma_f32 v[2:3], v[2:3], s[2:3], 0 op_sel_hi:[1,0,0]
	s_delay_alu instid0(VALU_DEP_1) | instskip(NEXT) | instid1(VALU_DEP_1)
	v_pk_mul_f32 v[2:3], v[2:3], v[2:3]
	v_dual_add_nc_u32 v5, -1, v1 :: v_dual_add_f32 v7, v2, v3
	s_delay_alu instid0(VALU_DEP_1) | instskip(NEXT) | instid1(VALU_DEP_2)
	v_cvt_f32_u32_e32 v5, v5
	v_cmp_gt_f32_e32 vcc_lo, 0xf800000, v7
	s_delay_alu instid0(VALU_DEP_2) | instskip(SKIP_1) | instid1(SALU_CYCLE_1)
	v_pk_fma_f32 v[2:3], v[4:5], s[2:3], 0 op_sel_hi:[1,0,0]
	s_add_co_i32 s3, s3, -2
	s_cmp_lg_u32 s3, 0
	s_delay_alu instid0(VALU_DEP_1) | instskip(NEXT) | instid1(VALU_DEP_1)
	v_pk_mul_f32 v[2:3], v[2:3], v[2:3]
	v_add_f32_e32 v2, v2, v3
	s_delay_alu instid0(VALU_DEP_1) | instskip(NEXT) | instid1(VALU_DEP_1)
	v_dual_mul_f32 v4, 0x4f800000, v7 :: v_dual_mul_f32 v5, 0x4f800000, v2
	v_cndmask_b32_e32 v4, v7, v4, vcc_lo
	v_cmp_gt_f32_e64 s0, 0xf800000, v2
	s_delay_alu instid0(VALU_DEP_2) | instskip(SKIP_1) | instid1(TRANS32_DEP_1)
	v_sqrt_f32_e32 v3, v4
	v_nop
	v_dual_add_nc_u32 v7, -1, v3 :: v_dual_cndmask_b32 v2, v2, v5, s0
	s_delay_alu instid0(VALU_DEP_1) | instskip(NEXT) | instid1(VALU_DEP_2)
	v_dual_add_nc_u32 v5, 1, v3 :: v_dual_fma_f32 v29, -v7, v3, v4
	v_sqrt_f32_e32 v30, v2
	s_delay_alu instid0(VALU_DEP_1) | instskip(NEXT) | instid1(VALU_DEP_2)
	v_fma_f32 v31, -v5, v3, v4
	v_cmp_ge_f32_e64 s1, 0, v29
	s_delay_alu instid0(TRANS32_DEP_1) | instid1(VALU_DEP_1)
	v_dual_cndmask_b32 v3, v3, v7, s1 :: v_dual_add_nc_u32 v7, -1, v30
	s_delay_alu instid0(VALU_DEP_3) | instskip(NEXT) | instid1(VALU_DEP_2)
	v_cmp_lt_f32_e64 s1, 0, v31
	v_fma_f32 v29, -v7, v30, v2
	s_delay_alu instid0(VALU_DEP_2) | instskip(NEXT) | instid1(VALU_DEP_2)
	v_dual_cndmask_b32 v3, v3, v5, s1 :: v_dual_add_nc_u32 v5, 1, v30
	v_cmp_ge_f32_e64 s1, 0, v29
	s_delay_alu instid0(VALU_DEP_1) | instskip(NEXT) | instid1(VALU_DEP_1)
	v_dual_fma_f32 v36, -v5, v30, v2 :: v_dual_cndmask_b32 v7, v30, v7, s1
	v_cmp_lt_f32_e64 s1, 0, v36
	s_delay_alu instid0(VALU_DEP_1) | instskip(SKIP_1) | instid1(VALU_DEP_1)
	v_cndmask_b32_e64 v5, v7, v5, s1
	v_mul_f32_e32 v31, 0x37800000, v3
	v_cndmask_b32_e32 v3, v3, v31, vcc_lo
	v_cmp_class_f32_e64 vcc_lo, v4, 0x260
	s_delay_alu instid0(VALU_DEP_2) | instskip(NEXT) | instid1(VALU_DEP_1)
	v_cndmask_b32_e32 v3, v3, v4, vcc_lo
	v_cmp_nge_f32_e32 vcc_lo, 1.0, v3
	v_dual_cndmask_b32 v3, v6, v28 :: v_dual_mul_f32 v4, 0x37800000, v5
	v_cmp_class_f32_e64 vcc_lo, v2, 0x260
	s_delay_alu instid0(VALU_DEP_2) | instskip(NEXT) | instid1(VALU_DEP_1)
	v_dual_cndmask_b32 v4, v5, v4, s0 :: v_dual_add_f32 v5, 1.0, v3
	v_cndmask_b32_e32 v2, v4, v2, vcc_lo
	s_delay_alu instid0(VALU_DEP_1) | instskip(NEXT) | instid1(VALU_DEP_3)
	v_cmp_nge_f32_e32 vcc_lo, 1.0, v2
	v_cndmask_b32_e32 v28, v5, v3, vcc_lo
	s_cbranch_scc1 .LBB27_501
; %bb.502:
	v_dual_mov_b32 v1, 1 :: v_dual_add_nc_u32 v2, 0x19a2800, v0
	s_mov_b32 s1, 0
	s_mov_b32 s12, exec_lo
	s_delay_alu instid0(VALU_DEP_1)
	v_cmpx_ne_u32_e32 0, v2
	s_cbranch_execz .LBB27_508
; %bb.503:
	v_mov_b32_e32 v3, 0
	v_mov_b64_e32 v[6:7], 1
	s_mov_b64 s[8:9], 0xbc8f
	s_mov_b64 s[2:3], 0xfffffffd
	;; [unrolled: 1-line block ×3, first 2 shown]
	v_mov_b64_e32 v[4:5], v[2:3]
	s_mov_b64 s[6:7], 0x80000001
	s_mov_b32 s13, 0
	s_branch .LBB27_505
.LBB27_504:                             ;   in Loop: Header=BB27_505 Depth=1
	s_or_b32 exec_lo, exec_lo, s0
	s_mul_u64 s[8:9], s[8:9], s[8:9]
	s_mov_b32 s15, s1
	s_and_b64 s[16:17], s[8:9], s[2:3]
	s_mov_b32 s0, s9
	s_mul_u64 s[18:19], s[16:17], 3
	s_mul_u64 s[20:21], s[0:1], 3
	s_mov_b32 s14, s19
	s_mul_u64 s[16:17], s[16:17], s[6:7]
	s_add_nc_u64 s[14:15], s[20:21], s[14:15]
	v_lshrrev_b64 v[30:31], 1, v[4:5]
	s_and_b64 s[20:21], s[14:15], s[4:5]
	s_mov_b32 s19, s1
	s_add_nc_u64 s[16:17], s[16:17], s[20:21]
	s_mov_b32 s23, s1
	s_mov_b32 s18, s15
	;; [unrolled: 1-line block ×3, first 2 shown]
	s_mul_u64 s[16:17], s[0:1], s[6:7]
	s_add_nc_u64 s[14:15], s[18:19], s[22:23]
	v_cmp_gt_u64_e32 vcc_lo, 2, v[4:5]
	s_add_nc_u64 s[14:15], s[16:17], s[14:15]
	v_mov_b64_e32 v[4:5], v[30:31]
	s_lshr_b64 s[14:15], s[14:15], 30
	s_delay_alu instid0(SALU_CYCLE_1)
	s_mul_u64 s[14:15], s[14:15], 0x7fffffff
	s_or_b32 s13, vcc_lo, s13
	s_sub_nc_u64 s[8:9], s[8:9], s[14:15]
	s_and_not1_b32 exec_lo, exec_lo, s13
	s_cbranch_execz .LBB27_507
.LBB27_505:                             ; =>This Inner Loop Header: Depth=1
	s_delay_alu instid0(VALU_DEP_1) | instskip(SKIP_1) | instid1(VALU_DEP_1)
	v_and_b32_e32 v1, 1, v4
	s_mov_b32 s0, exec_lo
	v_cmpx_eq_u32_e32 1, v1
	s_cbranch_execz .LBB27_504
; %bb.506:                              ;   in Loop: Header=BB27_505 Depth=1
	v_mul_u64_e32 v[6:7], s[8:9], v[6:7]
	s_delay_alu instid0(VALU_DEP_1) | instskip(NEXT) | instid1(VALU_DEP_1)
	v_mov_b32_e32 v2, v6
	v_mul_u64_e32 v[30:31], 5, v[2:3]
	s_delay_alu instid0(VALU_DEP_1) | instskip(NEXT) | instid1(VALU_DEP_1)
	v_mov_b32_e32 v2, v31
	v_mad_nc_u64_u32 v[30:31], v7, 5, v[2:3]
	s_delay_alu instid0(VALU_DEP_1) | instskip(NEXT) | instid1(VALU_DEP_1)
	v_dual_mov_b32 v2, v31 :: v_dual_mov_b32 v31, v3
	v_mad_nc_u64_u32 v[30:31], v6, 2, v[30:31]
	s_delay_alu instid0(VALU_DEP_1) | instskip(NEXT) | instid1(VALU_DEP_1)
	v_dual_mov_b32 v30, v31 :: v_dual_mov_b32 v31, v3
	v_add_nc_u64_e32 v[30:31], v[2:3], v[30:31]
	s_delay_alu instid0(VALU_DEP_1) | instskip(NEXT) | instid1(VALU_DEP_1)
	v_mad_nc_u64_u32 v[30:31], v7, 2, v[30:31]
	v_sub_nc_u64_e32 v[36:37], v[6:7], v[30:31]
	s_delay_alu instid0(VALU_DEP_1) | instskip(NEXT) | instid1(VALU_DEP_1)
	v_lshrrev_b64 v[36:37], 1, v[36:37]
	v_add_nc_u64_e32 v[30:31], v[36:37], v[30:31]
	s_delay_alu instid0(VALU_DEP_1) | instskip(NEXT) | instid1(VALU_DEP_1)
	v_lshrrev_b64 v[30:31], 30, v[30:31]
	v_mul_u64_e32 v[30:31], 0x7fffffff, v[30:31]
	s_delay_alu instid0(VALU_DEP_1)
	v_sub_nc_u64_e32 v[6:7], v[6:7], v[30:31]
	s_branch .LBB27_504
.LBB27_507:
	s_or_b32 exec_lo, exec_lo, s13
	v_add_min_u32_e64 v1, 0x80000001, v6, v6
	s_delay_alu instid0(VALU_DEP_1)
	v_add_min_u32_e64 v1, 0x80000001, v1, v1
.LBB27_508:
	s_or_b32 exec_lo, exec_lo, s12
	v_mov_b32_e32 v29, 0
	s_movk_i32 s3, 0x1388
	s_brev_b32 s2, 12
.LBB27_509:                             ; =>This Inner Loop Header: Depth=1
	v_mul_hi_u32 v2, 0xbc8f1391, v1
	s_delay_alu instid0(VALU_DEP_1) | instskip(NEXT) | instid1(VALU_DEP_1)
	v_lshrrev_b32_e32 v2, 15, v2
	v_mul_u32_u24_e32 v3, 0xadc8, v2
	s_delay_alu instid0(VALU_DEP_1) | instskip(SKIP_1) | instid1(VALU_DEP_2)
	v_sub_nc_u32_e32 v1, v1, v3
	v_mul_u32_u24_e32 v2, 0xd47, v2
	v_mul_lo_u32 v1, 0xbc8f, v1
	s_delay_alu instid0(VALU_DEP_2) | instskip(SKIP_1) | instid1(VALU_DEP_3)
	v_xor_b32_e32 v3, 0x7fffffff, v2
	v_sub_nc_u32_e32 v4, 0, v2
	v_cmp_lt_u32_e32 vcc_lo, v1, v2
	s_delay_alu instid0(VALU_DEP_2) | instskip(NEXT) | instid1(VALU_DEP_1)
	v_cndmask_b32_e32 v2, v4, v3, vcc_lo
	v_add_nc_u32_e32 v1, v2, v1
	s_delay_alu instid0(VALU_DEP_1) | instskip(NEXT) | instid1(VALU_DEP_1)
	v_mul_hi_u32 v2, 0xbc8f1391, v1
	v_lshrrev_b32_e32 v2, 15, v2
	s_delay_alu instid0(VALU_DEP_1) | instskip(SKIP_1) | instid1(VALU_DEP_2)
	v_mul_u32_u24_e32 v3, 0xadc8, v2
	v_mul_u32_u24_e32 v2, 0xd47, v2
	v_sub_nc_u32_e32 v3, v1, v3
	s_delay_alu instid0(VALU_DEP_2) | instskip(SKIP_1) | instid1(VALU_DEP_3)
	v_xor_b32_e32 v4, 0x7fffffff, v2
	v_add_nc_u32_e32 v1, -1, v1
	v_mul_lo_u32 v3, 0xbc8f, v3
	v_sub_nc_u32_e32 v5, 0, v2
	s_delay_alu instid0(VALU_DEP_2) | instskip(NEXT) | instid1(VALU_DEP_2)
	v_cmp_lt_u32_e32 vcc_lo, v3, v2
	v_cndmask_b32_e32 v2, v5, v4, vcc_lo
	s_delay_alu instid0(VALU_DEP_1) | instskip(NEXT) | instid1(VALU_DEP_1)
	v_add_nc_u32_e32 v3, v2, v3
	v_mul_hi_u32 v2, 0xbc8f1391, v3
	s_delay_alu instid0(VALU_DEP_1) | instskip(NEXT) | instid1(VALU_DEP_1)
	v_lshrrev_b32_e32 v2, 15, v2
	v_mul_u32_u24_e32 v4, 0xadc8, v2
	v_mul_u32_u24_e32 v2, 0xd47, v2
	s_delay_alu instid0(VALU_DEP_2) | instskip(NEXT) | instid1(VALU_DEP_2)
	v_sub_nc_u32_e32 v4, v3, v4
	v_xor_b32_e32 v5, 0x7fffffff, v2
	s_delay_alu instid0(VALU_DEP_2) | instskip(SKIP_1) | instid1(VALU_DEP_2)
	v_mul_lo_u32 v4, 0xbc8f, v4
	v_sub_nc_u32_e32 v6, 0, v2
	v_cmp_lt_u32_e32 vcc_lo, v4, v2
	s_delay_alu instid0(VALU_DEP_2) | instskip(NEXT) | instid1(VALU_DEP_1)
	v_cndmask_b32_e32 v2, v6, v5, vcc_lo
	v_dual_add_f32 v6, 1.0, v29 :: v_dual_add_nc_u32 v4, v2, v4
	s_delay_alu instid0(VALU_DEP_1) | instskip(NEXT) | instid1(VALU_DEP_1)
	v_mul_hi_u32 v2, 0xbc8f1391, v4
	v_lshrrev_b32_e32 v2, 15, v2
	s_delay_alu instid0(VALU_DEP_1) | instskip(SKIP_2) | instid1(VALU_DEP_3)
	v_mul_u32_u24_e32 v5, 0xadc8, v2
	v_mul_u32_u24_e32 v7, 0xd47, v2
	v_cvt_f32_u32_e32 v2, v1
	v_sub_nc_u32_e32 v5, v4, v5
	s_delay_alu instid0(VALU_DEP_3) | instskip(SKIP_1) | instid1(VALU_DEP_3)
	v_xor_b32_e32 v1, 0x7fffffff, v7
	v_dual_sub_nc_u32 v30, 0, v7 :: v_dual_add_nc_u32 v4, -1, v4
	v_mul_lo_u32 v5, 0xbc8f, v5
	s_delay_alu instid0(VALU_DEP_2) | instskip(NEXT) | instid1(VALU_DEP_2)
	v_cvt_f32_u32_e32 v4, v4
	v_cmp_lt_u32_e32 vcc_lo, v5, v7
	s_delay_alu instid0(VALU_DEP_4) | instskip(NEXT) | instid1(VALU_DEP_1)
	v_dual_add_nc_u32 v3, -1, v3 :: v_dual_cndmask_b32 v1, v30, v1, vcc_lo
	v_cvt_f32_u32_e32 v3, v3
	s_delay_alu instid0(VALU_DEP_2) | instskip(NEXT) | instid1(VALU_DEP_2)
	v_add_nc_u32_e32 v1, v1, v5
	v_pk_fma_f32 v[2:3], v[2:3], s[2:3], 0 op_sel_hi:[1,0,0]
	s_delay_alu instid0(VALU_DEP_1) | instskip(NEXT) | instid1(VALU_DEP_1)
	v_pk_mul_f32 v[2:3], v[2:3], v[2:3]
	v_dual_add_nc_u32 v5, -1, v1 :: v_dual_add_f32 v7, v2, v3
	s_delay_alu instid0(VALU_DEP_1) | instskip(NEXT) | instid1(VALU_DEP_2)
	v_cvt_f32_u32_e32 v5, v5
	v_cmp_gt_f32_e32 vcc_lo, 0xf800000, v7
	s_delay_alu instid0(VALU_DEP_2) | instskip(SKIP_1) | instid1(SALU_CYCLE_1)
	v_pk_fma_f32 v[2:3], v[4:5], s[2:3], 0 op_sel_hi:[1,0,0]
	s_add_co_i32 s3, s3, -2
	s_cmp_lg_u32 s3, 0
	s_delay_alu instid0(VALU_DEP_1) | instskip(NEXT) | instid1(VALU_DEP_1)
	v_pk_mul_f32 v[2:3], v[2:3], v[2:3]
	v_add_f32_e32 v2, v2, v3
	s_delay_alu instid0(VALU_DEP_1) | instskip(NEXT) | instid1(VALU_DEP_1)
	v_dual_mul_f32 v4, 0x4f800000, v7 :: v_dual_mul_f32 v5, 0x4f800000, v2
	v_cndmask_b32_e32 v4, v7, v4, vcc_lo
	v_cmp_gt_f32_e64 s0, 0xf800000, v2
	s_delay_alu instid0(VALU_DEP_2) | instskip(SKIP_1) | instid1(TRANS32_DEP_1)
	v_sqrt_f32_e32 v3, v4
	v_nop
	v_dual_add_nc_u32 v7, -1, v3 :: v_dual_cndmask_b32 v2, v2, v5, s0
	s_delay_alu instid0(VALU_DEP_1) | instskip(NEXT) | instid1(VALU_DEP_2)
	v_dual_add_nc_u32 v5, 1, v3 :: v_dual_fma_f32 v30, -v7, v3, v4
	v_sqrt_f32_e32 v31, v2
	s_delay_alu instid0(VALU_DEP_1) | instskip(NEXT) | instid1(VALU_DEP_2)
	v_fma_f32 v36, -v5, v3, v4
	v_cmp_ge_f32_e64 s1, 0, v30
	s_delay_alu instid0(VALU_DEP_1) | instskip(NEXT) | instid1(VALU_DEP_3)
	v_cndmask_b32_e64 v3, v3, v7, s1
	v_cmp_lt_f32_e64 s1, 0, v36
	s_delay_alu instid0(TRANS32_DEP_1) | instid1(VALU_DEP_1)
	v_dual_add_nc_u32 v7, -1, v31 :: v_dual_cndmask_b32 v3, v3, v5, s1
	s_delay_alu instid0(VALU_DEP_1) | instskip(NEXT) | instid1(VALU_DEP_2)
	v_dual_add_nc_u32 v5, 1, v31 :: v_dual_fma_f32 v30, -v7, v31, v2
	v_mul_f32_e32 v36, 0x37800000, v3
	s_delay_alu instid0(VALU_DEP_2) | instskip(NEXT) | instid1(VALU_DEP_3)
	v_fma_f32 v37, -v5, v31, v2
	v_cmp_ge_f32_e64 s1, 0, v30
	s_delay_alu instid0(VALU_DEP_3) | instskip(SKIP_1) | instid1(VALU_DEP_2)
	v_cndmask_b32_e32 v3, v3, v36, vcc_lo
	v_cmp_class_f32_e64 vcc_lo, v4, 0x260
	v_cndmask_b32_e32 v3, v3, v4, vcc_lo
	s_delay_alu instid0(VALU_DEP_1) | instskip(SKIP_4) | instid1(VALU_DEP_3)
	v_cmp_nge_f32_e32 vcc_lo, 1.0, v3
	v_cndmask_b32_e64 v7, v31, v7, s1
	v_cmp_lt_f32_e64 s1, 0, v37
	v_cndmask_b32_e32 v3, v6, v29, vcc_lo
	v_cmp_class_f32_e64 vcc_lo, v2, 0x260
	v_cndmask_b32_e64 v5, v7, v5, s1
	s_delay_alu instid0(VALU_DEP_1) | instskip(NEXT) | instid1(VALU_DEP_1)
	v_mul_f32_e32 v4, 0x37800000, v5
	v_dual_cndmask_b32 v4, v5, v4, s0 :: v_dual_add_f32 v5, 1.0, v3
	s_delay_alu instid0(VALU_DEP_1) | instskip(NEXT) | instid1(VALU_DEP_1)
	v_cndmask_b32_e32 v2, v4, v2, vcc_lo
	v_cmp_nge_f32_e32 vcc_lo, 1.0, v2
	s_delay_alu instid0(VALU_DEP_3)
	v_cndmask_b32_e32 v29, v5, v3, vcc_lo
	s_cbranch_scc1 .LBB27_509
; %bb.510:
	v_dual_mov_b32 v1, 1 :: v_dual_add_nc_u32 v2, 0x1adb000, v0
	s_mov_b32 s1, 0
	s_mov_b32 s12, exec_lo
	s_delay_alu instid0(VALU_DEP_1)
	v_cmpx_ne_u32_e32 0, v2
	s_cbranch_execz .LBB27_516
; %bb.511:
	v_mov_b32_e32 v3, 0
	v_mov_b64_e32 v[6:7], 1
	s_mov_b64 s[8:9], 0xbc8f
	s_mov_b64 s[2:3], 0xfffffffd
	;; [unrolled: 1-line block ×3, first 2 shown]
	v_mov_b64_e32 v[4:5], v[2:3]
	s_mov_b64 s[6:7], 0x80000001
	s_mov_b32 s13, 0
	s_branch .LBB27_513
.LBB27_512:                             ;   in Loop: Header=BB27_513 Depth=1
	s_or_b32 exec_lo, exec_lo, s0
	s_mul_u64 s[8:9], s[8:9], s[8:9]
	s_mov_b32 s15, s1
	s_and_b64 s[16:17], s[8:9], s[2:3]
	s_mov_b32 s0, s9
	s_mul_u64 s[18:19], s[16:17], 3
	s_mul_u64 s[20:21], s[0:1], 3
	s_mov_b32 s14, s19
	s_mul_u64 s[16:17], s[16:17], s[6:7]
	s_add_nc_u64 s[14:15], s[20:21], s[14:15]
	v_lshrrev_b64 v[30:31], 1, v[4:5]
	s_and_b64 s[20:21], s[14:15], s[4:5]
	s_mov_b32 s19, s1
	s_add_nc_u64 s[16:17], s[16:17], s[20:21]
	s_mov_b32 s23, s1
	s_mov_b32 s18, s15
	;; [unrolled: 1-line block ×3, first 2 shown]
	s_mul_u64 s[16:17], s[0:1], s[6:7]
	s_add_nc_u64 s[14:15], s[18:19], s[22:23]
	v_cmp_gt_u64_e32 vcc_lo, 2, v[4:5]
	s_add_nc_u64 s[14:15], s[16:17], s[14:15]
	v_mov_b64_e32 v[4:5], v[30:31]
	s_lshr_b64 s[14:15], s[14:15], 30
	s_delay_alu instid0(SALU_CYCLE_1)
	s_mul_u64 s[14:15], s[14:15], 0x7fffffff
	s_or_b32 s13, vcc_lo, s13
	s_sub_nc_u64 s[8:9], s[8:9], s[14:15]
	s_and_not1_b32 exec_lo, exec_lo, s13
	s_cbranch_execz .LBB27_515
.LBB27_513:                             ; =>This Inner Loop Header: Depth=1
	s_delay_alu instid0(VALU_DEP_1) | instskip(SKIP_1) | instid1(VALU_DEP_1)
	v_and_b32_e32 v1, 1, v4
	s_mov_b32 s0, exec_lo
	v_cmpx_eq_u32_e32 1, v1
	s_cbranch_execz .LBB27_512
; %bb.514:                              ;   in Loop: Header=BB27_513 Depth=1
	v_mul_u64_e32 v[6:7], s[8:9], v[6:7]
	s_delay_alu instid0(VALU_DEP_1) | instskip(NEXT) | instid1(VALU_DEP_1)
	v_mov_b32_e32 v2, v6
	v_mul_u64_e32 v[30:31], 5, v[2:3]
	s_delay_alu instid0(VALU_DEP_1) | instskip(NEXT) | instid1(VALU_DEP_1)
	v_mov_b32_e32 v2, v31
	v_mad_nc_u64_u32 v[30:31], v7, 5, v[2:3]
	s_delay_alu instid0(VALU_DEP_1) | instskip(NEXT) | instid1(VALU_DEP_1)
	v_dual_mov_b32 v2, v31 :: v_dual_mov_b32 v31, v3
	v_mad_nc_u64_u32 v[30:31], v6, 2, v[30:31]
	s_delay_alu instid0(VALU_DEP_1) | instskip(NEXT) | instid1(VALU_DEP_1)
	v_dual_mov_b32 v30, v31 :: v_dual_mov_b32 v31, v3
	v_add_nc_u64_e32 v[30:31], v[2:3], v[30:31]
	s_delay_alu instid0(VALU_DEP_1) | instskip(NEXT) | instid1(VALU_DEP_1)
	v_mad_nc_u64_u32 v[30:31], v7, 2, v[30:31]
	v_sub_nc_u64_e32 v[36:37], v[6:7], v[30:31]
	s_delay_alu instid0(VALU_DEP_1) | instskip(NEXT) | instid1(VALU_DEP_1)
	v_lshrrev_b64 v[36:37], 1, v[36:37]
	v_add_nc_u64_e32 v[30:31], v[36:37], v[30:31]
	s_delay_alu instid0(VALU_DEP_1) | instskip(NEXT) | instid1(VALU_DEP_1)
	v_lshrrev_b64 v[30:31], 30, v[30:31]
	v_mul_u64_e32 v[30:31], 0x7fffffff, v[30:31]
	s_delay_alu instid0(VALU_DEP_1)
	v_sub_nc_u64_e32 v[6:7], v[6:7], v[30:31]
	s_branch .LBB27_512
.LBB27_515:
	s_or_b32 exec_lo, exec_lo, s13
	v_add_min_u32_e64 v1, 0x80000001, v6, v6
	s_delay_alu instid0(VALU_DEP_1)
	v_add_min_u32_e64 v1, 0x80000001, v1, v1
.LBB27_516:
	s_or_b32 exec_lo, exec_lo, s12
	v_mov_b32_e32 v30, 0
	s_movk_i32 s3, 0x1388
	s_brev_b32 s2, 12
.LBB27_517:                             ; =>This Inner Loop Header: Depth=1
	v_mul_hi_u32 v2, 0xbc8f1391, v1
	s_delay_alu instid0(VALU_DEP_1) | instskip(NEXT) | instid1(VALU_DEP_1)
	v_lshrrev_b32_e32 v2, 15, v2
	v_mul_u32_u24_e32 v3, 0xadc8, v2
	s_delay_alu instid0(VALU_DEP_1) | instskip(SKIP_1) | instid1(VALU_DEP_2)
	v_sub_nc_u32_e32 v1, v1, v3
	v_mul_u32_u24_e32 v2, 0xd47, v2
	v_mul_lo_u32 v1, 0xbc8f, v1
	s_delay_alu instid0(VALU_DEP_2) | instskip(SKIP_1) | instid1(VALU_DEP_3)
	v_xor_b32_e32 v3, 0x7fffffff, v2
	v_sub_nc_u32_e32 v4, 0, v2
	v_cmp_lt_u32_e32 vcc_lo, v1, v2
	s_delay_alu instid0(VALU_DEP_2) | instskip(NEXT) | instid1(VALU_DEP_1)
	v_cndmask_b32_e32 v2, v4, v3, vcc_lo
	v_add_nc_u32_e32 v1, v2, v1
	s_delay_alu instid0(VALU_DEP_1) | instskip(NEXT) | instid1(VALU_DEP_1)
	v_mul_hi_u32 v2, 0xbc8f1391, v1
	v_lshrrev_b32_e32 v2, 15, v2
	s_delay_alu instid0(VALU_DEP_1) | instskip(SKIP_1) | instid1(VALU_DEP_2)
	v_mul_u32_u24_e32 v3, 0xadc8, v2
	v_mul_u32_u24_e32 v2, 0xd47, v2
	v_sub_nc_u32_e32 v3, v1, v3
	s_delay_alu instid0(VALU_DEP_2) | instskip(SKIP_1) | instid1(VALU_DEP_3)
	v_xor_b32_e32 v4, 0x7fffffff, v2
	v_add_nc_u32_e32 v1, -1, v1
	v_mul_lo_u32 v3, 0xbc8f, v3
	v_sub_nc_u32_e32 v5, 0, v2
	s_delay_alu instid0(VALU_DEP_2) | instskip(NEXT) | instid1(VALU_DEP_2)
	v_cmp_lt_u32_e32 vcc_lo, v3, v2
	v_cndmask_b32_e32 v2, v5, v4, vcc_lo
	s_delay_alu instid0(VALU_DEP_1) | instskip(NEXT) | instid1(VALU_DEP_1)
	v_add_nc_u32_e32 v3, v2, v3
	v_mul_hi_u32 v2, 0xbc8f1391, v3
	s_delay_alu instid0(VALU_DEP_1) | instskip(NEXT) | instid1(VALU_DEP_1)
	v_lshrrev_b32_e32 v2, 15, v2
	v_mul_u32_u24_e32 v4, 0xadc8, v2
	v_mul_u32_u24_e32 v2, 0xd47, v2
	s_delay_alu instid0(VALU_DEP_2) | instskip(NEXT) | instid1(VALU_DEP_2)
	v_sub_nc_u32_e32 v4, v3, v4
	v_xor_b32_e32 v5, 0x7fffffff, v2
	s_delay_alu instid0(VALU_DEP_2) | instskip(SKIP_1) | instid1(VALU_DEP_2)
	v_mul_lo_u32 v4, 0xbc8f, v4
	v_sub_nc_u32_e32 v6, 0, v2
	v_cmp_lt_u32_e32 vcc_lo, v4, v2
	s_delay_alu instid0(VALU_DEP_2) | instskip(NEXT) | instid1(VALU_DEP_1)
	v_dual_cndmask_b32 v2, v6, v5, vcc_lo :: v_dual_add_f32 v6, 1.0, v30
	v_add_nc_u32_e32 v4, v2, v4
	s_delay_alu instid0(VALU_DEP_1) | instskip(NEXT) | instid1(VALU_DEP_1)
	v_mul_hi_u32 v2, 0xbc8f1391, v4
	v_lshrrev_b32_e32 v2, 15, v2
	s_delay_alu instid0(VALU_DEP_1) | instskip(SKIP_2) | instid1(VALU_DEP_3)
	v_mul_u32_u24_e32 v5, 0xadc8, v2
	v_mul_u32_u24_e32 v7, 0xd47, v2
	v_cvt_f32_u32_e32 v2, v1
	v_sub_nc_u32_e32 v5, v4, v5
	s_delay_alu instid0(VALU_DEP_3) | instskip(SKIP_1) | instid1(VALU_DEP_3)
	v_xor_b32_e32 v1, 0x7fffffff, v7
	v_dual_sub_nc_u32 v31, 0, v7 :: v_dual_add_nc_u32 v4, -1, v4
	v_mul_lo_u32 v5, 0xbc8f, v5
	s_delay_alu instid0(VALU_DEP_2) | instskip(NEXT) | instid1(VALU_DEP_2)
	v_cvt_f32_u32_e32 v4, v4
	v_cmp_lt_u32_e32 vcc_lo, v5, v7
	s_delay_alu instid0(VALU_DEP_4) | instskip(NEXT) | instid1(VALU_DEP_1)
	v_dual_add_nc_u32 v3, -1, v3 :: v_dual_cndmask_b32 v1, v31, v1, vcc_lo
	v_cvt_f32_u32_e32 v3, v3
	s_delay_alu instid0(VALU_DEP_2) | instskip(NEXT) | instid1(VALU_DEP_2)
	v_add_nc_u32_e32 v1, v1, v5
	v_pk_fma_f32 v[2:3], v[2:3], s[2:3], 0 op_sel_hi:[1,0,0]
	s_delay_alu instid0(VALU_DEP_1) | instskip(NEXT) | instid1(VALU_DEP_1)
	v_pk_mul_f32 v[2:3], v[2:3], v[2:3]
	v_dual_add_nc_u32 v5, -1, v1 :: v_dual_add_f32 v7, v2, v3
	s_delay_alu instid0(VALU_DEP_1) | instskip(NEXT) | instid1(VALU_DEP_2)
	v_cvt_f32_u32_e32 v5, v5
	v_cmp_gt_f32_e32 vcc_lo, 0xf800000, v7
	s_delay_alu instid0(VALU_DEP_2) | instskip(SKIP_1) | instid1(SALU_CYCLE_1)
	v_pk_fma_f32 v[2:3], v[4:5], s[2:3], 0 op_sel_hi:[1,0,0]
	s_add_co_i32 s3, s3, -2
	s_cmp_lg_u32 s3, 0
	s_delay_alu instid0(VALU_DEP_1) | instskip(NEXT) | instid1(VALU_DEP_1)
	v_pk_mul_f32 v[2:3], v[2:3], v[2:3]
	v_add_f32_e32 v2, v2, v3
	s_delay_alu instid0(VALU_DEP_1) | instskip(NEXT) | instid1(VALU_DEP_1)
	v_dual_mul_f32 v4, 0x4f800000, v7 :: v_dual_mul_f32 v5, 0x4f800000, v2
	v_cndmask_b32_e32 v4, v7, v4, vcc_lo
	v_cmp_gt_f32_e64 s0, 0xf800000, v2
	s_delay_alu instid0(VALU_DEP_2) | instskip(SKIP_1) | instid1(TRANS32_DEP_1)
	v_sqrt_f32_e32 v3, v4
	v_nop
	v_dual_add_nc_u32 v7, -1, v3 :: v_dual_cndmask_b32 v2, v2, v5, s0
	s_delay_alu instid0(VALU_DEP_1) | instskip(NEXT) | instid1(VALU_DEP_2)
	v_dual_add_nc_u32 v5, 1, v3 :: v_dual_fma_f32 v31, -v7, v3, v4
	v_sqrt_f32_e32 v36, v2
	s_delay_alu instid0(VALU_DEP_1) | instskip(NEXT) | instid1(VALU_DEP_2)
	v_fma_f32 v37, -v5, v3, v4
	v_cmp_ge_f32_e64 s1, 0, v31
	s_delay_alu instid0(TRANS32_DEP_1) | instid1(VALU_DEP_1)
	v_dual_cndmask_b32 v3, v3, v7, s1 :: v_dual_add_nc_u32 v7, -1, v36
	s_delay_alu instid0(VALU_DEP_3) | instskip(NEXT) | instid1(VALU_DEP_2)
	v_cmp_lt_f32_e64 s1, 0, v37
	v_fma_f32 v31, -v7, v36, v2
	s_delay_alu instid0(VALU_DEP_2) | instskip(NEXT) | instid1(VALU_DEP_2)
	v_dual_cndmask_b32 v3, v3, v5, s1 :: v_dual_add_nc_u32 v5, 1, v36
	v_cmp_ge_f32_e64 s1, 0, v31
	s_delay_alu instid0(VALU_DEP_1) | instskip(NEXT) | instid1(VALU_DEP_1)
	v_dual_fma_f32 v38, -v5, v36, v2 :: v_dual_cndmask_b32 v7, v36, v7, s1
	v_cmp_lt_f32_e64 s1, 0, v38
	s_delay_alu instid0(VALU_DEP_1) | instskip(SKIP_1) | instid1(VALU_DEP_1)
	v_cndmask_b32_e64 v5, v7, v5, s1
	v_mul_f32_e32 v37, 0x37800000, v3
	v_cndmask_b32_e32 v3, v3, v37, vcc_lo
	v_cmp_class_f32_e64 vcc_lo, v4, 0x260
	s_delay_alu instid0(VALU_DEP_2) | instskip(NEXT) | instid1(VALU_DEP_1)
	v_cndmask_b32_e32 v3, v3, v4, vcc_lo
	v_cmp_nge_f32_e32 vcc_lo, 1.0, v3
	v_dual_cndmask_b32 v3, v6, v30 :: v_dual_mul_f32 v4, 0x37800000, v5
	v_cmp_class_f32_e64 vcc_lo, v2, 0x260
	s_delay_alu instid0(VALU_DEP_2) | instskip(NEXT) | instid1(VALU_DEP_1)
	v_dual_cndmask_b32 v4, v5, v4, s0 :: v_dual_add_f32 v5, 1.0, v3
	v_cndmask_b32_e32 v2, v4, v2, vcc_lo
	s_delay_alu instid0(VALU_DEP_1) | instskip(NEXT) | instid1(VALU_DEP_3)
	v_cmp_nge_f32_e32 vcc_lo, 1.0, v2
	v_cndmask_b32_e32 v30, v5, v3, vcc_lo
	s_cbranch_scc1 .LBB27_517
; %bb.518:
	v_dual_mov_b32 v1, 1 :: v_dual_add_nc_u32 v2, 0x1c13800, v0
	s_mov_b32 s1, 0
	s_mov_b32 s12, exec_lo
	s_delay_alu instid0(VALU_DEP_1)
	v_cmpx_ne_u32_e32 0, v2
	s_cbranch_execz .LBB27_524
; %bb.519:
	v_mov_b32_e32 v3, 0
	v_mov_b64_e32 v[6:7], 1
	s_mov_b64 s[8:9], 0xbc8f
	s_mov_b64 s[2:3], 0xfffffffd
	;; [unrolled: 1-line block ×3, first 2 shown]
	v_mov_b64_e32 v[4:5], v[2:3]
	s_mov_b64 s[6:7], 0x80000001
	s_mov_b32 s13, 0
	s_branch .LBB27_521
.LBB27_520:                             ;   in Loop: Header=BB27_521 Depth=1
	s_or_b32 exec_lo, exec_lo, s0
	s_mul_u64 s[8:9], s[8:9], s[8:9]
	s_mov_b32 s15, s1
	s_and_b64 s[16:17], s[8:9], s[2:3]
	s_mov_b32 s0, s9
	s_mul_u64 s[18:19], s[16:17], 3
	s_mul_u64 s[20:21], s[0:1], 3
	s_mov_b32 s14, s19
	s_mul_u64 s[16:17], s[16:17], s[6:7]
	s_add_nc_u64 s[14:15], s[20:21], s[14:15]
	v_lshrrev_b64 v[36:37], 1, v[4:5]
	s_and_b64 s[20:21], s[14:15], s[4:5]
	s_mov_b32 s19, s1
	s_add_nc_u64 s[16:17], s[16:17], s[20:21]
	s_mov_b32 s23, s1
	s_mov_b32 s18, s15
	;; [unrolled: 1-line block ×3, first 2 shown]
	s_mul_u64 s[16:17], s[0:1], s[6:7]
	s_add_nc_u64 s[14:15], s[18:19], s[22:23]
	v_cmp_gt_u64_e32 vcc_lo, 2, v[4:5]
	s_add_nc_u64 s[14:15], s[16:17], s[14:15]
	v_mov_b64_e32 v[4:5], v[36:37]
	s_lshr_b64 s[14:15], s[14:15], 30
	s_delay_alu instid0(SALU_CYCLE_1)
	s_mul_u64 s[14:15], s[14:15], 0x7fffffff
	s_or_b32 s13, vcc_lo, s13
	s_sub_nc_u64 s[8:9], s[8:9], s[14:15]
	s_and_not1_b32 exec_lo, exec_lo, s13
	s_cbranch_execz .LBB27_523
.LBB27_521:                             ; =>This Inner Loop Header: Depth=1
	s_delay_alu instid0(VALU_DEP_1) | instskip(SKIP_1) | instid1(VALU_DEP_1)
	v_and_b32_e32 v1, 1, v4
	s_mov_b32 s0, exec_lo
	v_cmpx_eq_u32_e32 1, v1
	s_cbranch_execz .LBB27_520
; %bb.522:                              ;   in Loop: Header=BB27_521 Depth=1
	v_mul_u64_e32 v[6:7], s[8:9], v[6:7]
	s_delay_alu instid0(VALU_DEP_1) | instskip(NEXT) | instid1(VALU_DEP_1)
	v_mov_b32_e32 v2, v6
	v_mul_u64_e32 v[36:37], 5, v[2:3]
	s_delay_alu instid0(VALU_DEP_1) | instskip(NEXT) | instid1(VALU_DEP_1)
	v_mov_b32_e32 v2, v37
	v_mad_nc_u64_u32 v[36:37], v7, 5, v[2:3]
	s_delay_alu instid0(VALU_DEP_1) | instskip(NEXT) | instid1(VALU_DEP_1)
	v_dual_mov_b32 v2, v37 :: v_dual_mov_b32 v37, v3
	v_mad_nc_u64_u32 v[36:37], v6, 2, v[36:37]
	s_delay_alu instid0(VALU_DEP_1) | instskip(NEXT) | instid1(VALU_DEP_1)
	v_dual_mov_b32 v36, v37 :: v_dual_mov_b32 v37, v3
	v_add_nc_u64_e32 v[36:37], v[2:3], v[36:37]
	s_delay_alu instid0(VALU_DEP_1) | instskip(NEXT) | instid1(VALU_DEP_1)
	v_mad_nc_u64_u32 v[36:37], v7, 2, v[36:37]
	v_sub_nc_u64_e32 v[38:39], v[6:7], v[36:37]
	s_delay_alu instid0(VALU_DEP_1) | instskip(NEXT) | instid1(VALU_DEP_1)
	v_lshrrev_b64 v[38:39], 1, v[38:39]
	v_add_nc_u64_e32 v[36:37], v[38:39], v[36:37]
	s_delay_alu instid0(VALU_DEP_1) | instskip(NEXT) | instid1(VALU_DEP_1)
	v_lshrrev_b64 v[36:37], 30, v[36:37]
	v_mul_u64_e32 v[36:37], 0x7fffffff, v[36:37]
	s_delay_alu instid0(VALU_DEP_1)
	v_sub_nc_u64_e32 v[6:7], v[6:7], v[36:37]
	s_branch .LBB27_520
.LBB27_523:
	s_or_b32 exec_lo, exec_lo, s13
	v_add_min_u32_e64 v1, 0x80000001, v6, v6
	s_delay_alu instid0(VALU_DEP_1)
	v_add_min_u32_e64 v1, 0x80000001, v1, v1
.LBB27_524:
	s_or_b32 exec_lo, exec_lo, s12
	v_mov_b32_e32 v31, 0
	s_movk_i32 s3, 0x1388
	s_brev_b32 s2, 12
.LBB27_525:                             ; =>This Inner Loop Header: Depth=1
	v_mul_hi_u32 v2, 0xbc8f1391, v1
	s_delay_alu instid0(VALU_DEP_1) | instskip(NEXT) | instid1(VALU_DEP_1)
	v_lshrrev_b32_e32 v2, 15, v2
	v_mul_u32_u24_e32 v3, 0xadc8, v2
	s_delay_alu instid0(VALU_DEP_1) | instskip(SKIP_1) | instid1(VALU_DEP_2)
	v_sub_nc_u32_e32 v1, v1, v3
	v_mul_u32_u24_e32 v2, 0xd47, v2
	v_mul_lo_u32 v1, 0xbc8f, v1
	s_delay_alu instid0(VALU_DEP_2) | instskip(SKIP_1) | instid1(VALU_DEP_3)
	v_xor_b32_e32 v3, 0x7fffffff, v2
	v_sub_nc_u32_e32 v4, 0, v2
	v_cmp_lt_u32_e32 vcc_lo, v1, v2
	s_delay_alu instid0(VALU_DEP_2) | instskip(NEXT) | instid1(VALU_DEP_1)
	v_cndmask_b32_e32 v2, v4, v3, vcc_lo
	v_add_nc_u32_e32 v1, v2, v1
	s_delay_alu instid0(VALU_DEP_1) | instskip(NEXT) | instid1(VALU_DEP_1)
	v_mul_hi_u32 v2, 0xbc8f1391, v1
	v_lshrrev_b32_e32 v2, 15, v2
	s_delay_alu instid0(VALU_DEP_1) | instskip(SKIP_1) | instid1(VALU_DEP_2)
	v_mul_u32_u24_e32 v3, 0xadc8, v2
	v_mul_u32_u24_e32 v2, 0xd47, v2
	v_sub_nc_u32_e32 v3, v1, v3
	s_delay_alu instid0(VALU_DEP_2) | instskip(SKIP_1) | instid1(VALU_DEP_3)
	v_xor_b32_e32 v4, 0x7fffffff, v2
	v_add_nc_u32_e32 v1, -1, v1
	v_mul_lo_u32 v3, 0xbc8f, v3
	v_sub_nc_u32_e32 v5, 0, v2
	s_delay_alu instid0(VALU_DEP_2) | instskip(NEXT) | instid1(VALU_DEP_2)
	v_cmp_lt_u32_e32 vcc_lo, v3, v2
	v_cndmask_b32_e32 v2, v5, v4, vcc_lo
	s_delay_alu instid0(VALU_DEP_1) | instskip(NEXT) | instid1(VALU_DEP_1)
	v_add_nc_u32_e32 v3, v2, v3
	v_mul_hi_u32 v2, 0xbc8f1391, v3
	s_delay_alu instid0(VALU_DEP_1) | instskip(NEXT) | instid1(VALU_DEP_1)
	v_lshrrev_b32_e32 v2, 15, v2
	v_mul_u32_u24_e32 v4, 0xadc8, v2
	v_mul_u32_u24_e32 v2, 0xd47, v2
	s_delay_alu instid0(VALU_DEP_2) | instskip(NEXT) | instid1(VALU_DEP_2)
	v_sub_nc_u32_e32 v4, v3, v4
	v_xor_b32_e32 v5, 0x7fffffff, v2
	s_delay_alu instid0(VALU_DEP_2) | instskip(SKIP_1) | instid1(VALU_DEP_2)
	v_mul_lo_u32 v4, 0xbc8f, v4
	v_sub_nc_u32_e32 v6, 0, v2
	v_cmp_lt_u32_e32 vcc_lo, v4, v2
	s_delay_alu instid0(VALU_DEP_2) | instskip(NEXT) | instid1(VALU_DEP_1)
	v_dual_cndmask_b32 v2, v6, v5, vcc_lo :: v_dual_add_f32 v6, 1.0, v31
	v_add_nc_u32_e32 v4, v2, v4
	s_delay_alu instid0(VALU_DEP_1) | instskip(NEXT) | instid1(VALU_DEP_1)
	v_mul_hi_u32 v2, 0xbc8f1391, v4
	v_lshrrev_b32_e32 v2, 15, v2
	s_delay_alu instid0(VALU_DEP_1) | instskip(SKIP_2) | instid1(VALU_DEP_3)
	v_mul_u32_u24_e32 v5, 0xadc8, v2
	v_mul_u32_u24_e32 v7, 0xd47, v2
	v_cvt_f32_u32_e32 v2, v1
	v_sub_nc_u32_e32 v5, v4, v5
	s_delay_alu instid0(VALU_DEP_3) | instskip(SKIP_1) | instid1(VALU_DEP_3)
	v_xor_b32_e32 v1, 0x7fffffff, v7
	v_dual_sub_nc_u32 v36, 0, v7 :: v_dual_add_nc_u32 v4, -1, v4
	v_mul_lo_u32 v5, 0xbc8f, v5
	s_delay_alu instid0(VALU_DEP_2) | instskip(NEXT) | instid1(VALU_DEP_2)
	v_cvt_f32_u32_e32 v4, v4
	v_cmp_lt_u32_e32 vcc_lo, v5, v7
	s_delay_alu instid0(VALU_DEP_4) | instskip(NEXT) | instid1(VALU_DEP_1)
	v_dual_add_nc_u32 v3, -1, v3 :: v_dual_cndmask_b32 v1, v36, v1, vcc_lo
	v_cvt_f32_u32_e32 v3, v3
	s_delay_alu instid0(VALU_DEP_2) | instskip(NEXT) | instid1(VALU_DEP_2)
	v_add_nc_u32_e32 v1, v1, v5
	v_pk_fma_f32 v[2:3], v[2:3], s[2:3], 0 op_sel_hi:[1,0,0]
	s_delay_alu instid0(VALU_DEP_1) | instskip(NEXT) | instid1(VALU_DEP_1)
	v_pk_mul_f32 v[2:3], v[2:3], v[2:3]
	v_dual_add_nc_u32 v5, -1, v1 :: v_dual_add_f32 v7, v2, v3
	s_delay_alu instid0(VALU_DEP_1) | instskip(NEXT) | instid1(VALU_DEP_2)
	v_cvt_f32_u32_e32 v5, v5
	v_cmp_gt_f32_e32 vcc_lo, 0xf800000, v7
	s_delay_alu instid0(VALU_DEP_2) | instskip(SKIP_1) | instid1(SALU_CYCLE_1)
	v_pk_fma_f32 v[2:3], v[4:5], s[2:3], 0 op_sel_hi:[1,0,0]
	s_add_co_i32 s3, s3, -2
	s_cmp_lg_u32 s3, 0
	s_delay_alu instid0(VALU_DEP_1) | instskip(NEXT) | instid1(VALU_DEP_1)
	v_pk_mul_f32 v[2:3], v[2:3], v[2:3]
	v_add_f32_e32 v2, v2, v3
	s_delay_alu instid0(VALU_DEP_1) | instskip(NEXT) | instid1(VALU_DEP_1)
	v_dual_mul_f32 v4, 0x4f800000, v7 :: v_dual_mul_f32 v5, 0x4f800000, v2
	v_cndmask_b32_e32 v4, v7, v4, vcc_lo
	v_cmp_gt_f32_e64 s0, 0xf800000, v2
	s_delay_alu instid0(VALU_DEP_2) | instskip(SKIP_1) | instid1(TRANS32_DEP_1)
	v_sqrt_f32_e32 v3, v4
	v_nop
	v_dual_add_nc_u32 v7, -1, v3 :: v_dual_cndmask_b32 v2, v2, v5, s0
	s_delay_alu instid0(VALU_DEP_1) | instskip(NEXT) | instid1(VALU_DEP_2)
	v_dual_add_nc_u32 v5, 1, v3 :: v_dual_fma_f32 v36, -v7, v3, v4
	v_sqrt_f32_e32 v37, v2
	s_delay_alu instid0(VALU_DEP_1) | instskip(NEXT) | instid1(VALU_DEP_2)
	v_fma_f32 v38, -v5, v3, v4
	v_cmp_ge_f32_e64 s1, 0, v36
	s_delay_alu instid0(TRANS32_DEP_1) | instid1(VALU_DEP_1)
	v_dual_cndmask_b32 v3, v3, v7, s1 :: v_dual_add_nc_u32 v7, -1, v37
	s_delay_alu instid0(VALU_DEP_3) | instskip(NEXT) | instid1(VALU_DEP_1)
	v_cmp_lt_f32_e64 s1, 0, v38
	v_cndmask_b32_e64 v3, v3, v5, s1
	s_delay_alu instid0(VALU_DEP_3) | instskip(NEXT) | instid1(VALU_DEP_1)
	v_dual_add_nc_u32 v5, 1, v37 :: v_dual_fma_f32 v36, -v7, v37, v2
	v_fma_f32 v39, -v5, v37, v2
	s_delay_alu instid0(VALU_DEP_2) | instskip(NEXT) | instid1(VALU_DEP_1)
	v_cmp_ge_f32_e64 s1, 0, v36
	v_cndmask_b32_e64 v7, v37, v7, s1
	v_mul_f32_e32 v38, 0x37800000, v3
	s_delay_alu instid0(VALU_DEP_4) | instskip(NEXT) | instid1(VALU_DEP_1)
	v_cmp_lt_f32_e64 s1, 0, v39
	v_cndmask_b32_e64 v5, v7, v5, s1
	s_delay_alu instid0(VALU_DEP_3) | instskip(SKIP_1) | instid1(VALU_DEP_2)
	v_cndmask_b32_e32 v3, v3, v38, vcc_lo
	v_cmp_class_f32_e64 vcc_lo, v4, 0x260
	v_cndmask_b32_e32 v3, v3, v4, vcc_lo
	s_delay_alu instid0(VALU_DEP_1) | instskip(SKIP_2) | instid1(VALU_DEP_2)
	v_cmp_nge_f32_e32 vcc_lo, 1.0, v3
	v_dual_cndmask_b32 v3, v6, v31 :: v_dual_mul_f32 v4, 0x37800000, v5
	v_cmp_class_f32_e64 vcc_lo, v2, 0x260
	v_dual_cndmask_b32 v4, v5, v4, s0 :: v_dual_add_f32 v5, 1.0, v3
	s_delay_alu instid0(VALU_DEP_1) | instskip(NEXT) | instid1(VALU_DEP_1)
	v_cndmask_b32_e32 v2, v4, v2, vcc_lo
	v_cmp_nge_f32_e32 vcc_lo, 1.0, v2
	s_delay_alu instid0(VALU_DEP_3)
	v_cndmask_b32_e32 v31, v5, v3, vcc_lo
	s_cbranch_scc1 .LBB27_525
; %bb.526:
	v_dual_mov_b32 v1, 1 :: v_dual_add_nc_u32 v2, 0x1d4c000, v0
	s_mov_b32 s1, 0
	s_mov_b32 s12, exec_lo
	s_delay_alu instid0(VALU_DEP_1)
	v_cmpx_ne_u32_e32 0, v2
	s_cbranch_execz .LBB27_532
; %bb.527:
	v_mov_b32_e32 v3, 0
	v_mov_b64_e32 v[6:7], 1
	s_mov_b64 s[8:9], 0xbc8f
	s_mov_b64 s[2:3], 0xfffffffd
	;; [unrolled: 1-line block ×3, first 2 shown]
	v_mov_b64_e32 v[4:5], v[2:3]
	s_mov_b64 s[6:7], 0x80000001
	s_mov_b32 s13, 0
	s_branch .LBB27_529
.LBB27_528:                             ;   in Loop: Header=BB27_529 Depth=1
	s_or_b32 exec_lo, exec_lo, s0
	s_mul_u64 s[8:9], s[8:9], s[8:9]
	s_mov_b32 s15, s1
	s_and_b64 s[16:17], s[8:9], s[2:3]
	s_mov_b32 s0, s9
	s_mul_u64 s[18:19], s[16:17], 3
	s_mul_u64 s[20:21], s[0:1], 3
	s_mov_b32 s14, s19
	s_mul_u64 s[16:17], s[16:17], s[6:7]
	s_add_nc_u64 s[14:15], s[20:21], s[14:15]
	v_lshrrev_b64 v[36:37], 1, v[4:5]
	s_and_b64 s[20:21], s[14:15], s[4:5]
	s_mov_b32 s19, s1
	s_add_nc_u64 s[16:17], s[16:17], s[20:21]
	s_mov_b32 s23, s1
	s_mov_b32 s18, s15
	;; [unrolled: 1-line block ×3, first 2 shown]
	s_mul_u64 s[16:17], s[0:1], s[6:7]
	s_add_nc_u64 s[14:15], s[18:19], s[22:23]
	v_cmp_gt_u64_e32 vcc_lo, 2, v[4:5]
	s_add_nc_u64 s[14:15], s[16:17], s[14:15]
	v_mov_b64_e32 v[4:5], v[36:37]
	s_lshr_b64 s[14:15], s[14:15], 30
	s_delay_alu instid0(SALU_CYCLE_1)
	s_mul_u64 s[14:15], s[14:15], 0x7fffffff
	s_or_b32 s13, vcc_lo, s13
	s_sub_nc_u64 s[8:9], s[8:9], s[14:15]
	s_and_not1_b32 exec_lo, exec_lo, s13
	s_cbranch_execz .LBB27_531
.LBB27_529:                             ; =>This Inner Loop Header: Depth=1
	s_delay_alu instid0(VALU_DEP_1) | instskip(SKIP_1) | instid1(VALU_DEP_1)
	v_and_b32_e32 v1, 1, v4
	s_mov_b32 s0, exec_lo
	v_cmpx_eq_u32_e32 1, v1
	s_cbranch_execz .LBB27_528
; %bb.530:                              ;   in Loop: Header=BB27_529 Depth=1
	v_mul_u64_e32 v[6:7], s[8:9], v[6:7]
	s_delay_alu instid0(VALU_DEP_1) | instskip(NEXT) | instid1(VALU_DEP_1)
	v_mov_b32_e32 v2, v6
	v_mul_u64_e32 v[36:37], 5, v[2:3]
	s_delay_alu instid0(VALU_DEP_1) | instskip(NEXT) | instid1(VALU_DEP_1)
	v_mov_b32_e32 v2, v37
	v_mad_nc_u64_u32 v[36:37], v7, 5, v[2:3]
	s_delay_alu instid0(VALU_DEP_1) | instskip(NEXT) | instid1(VALU_DEP_1)
	v_dual_mov_b32 v2, v37 :: v_dual_mov_b32 v37, v3
	v_mad_nc_u64_u32 v[36:37], v6, 2, v[36:37]
	s_delay_alu instid0(VALU_DEP_1) | instskip(NEXT) | instid1(VALU_DEP_1)
	v_dual_mov_b32 v36, v37 :: v_dual_mov_b32 v37, v3
	v_add_nc_u64_e32 v[36:37], v[2:3], v[36:37]
	s_delay_alu instid0(VALU_DEP_1) | instskip(NEXT) | instid1(VALU_DEP_1)
	v_mad_nc_u64_u32 v[36:37], v7, 2, v[36:37]
	v_sub_nc_u64_e32 v[38:39], v[6:7], v[36:37]
	s_delay_alu instid0(VALU_DEP_1) | instskip(NEXT) | instid1(VALU_DEP_1)
	v_lshrrev_b64 v[38:39], 1, v[38:39]
	v_add_nc_u64_e32 v[36:37], v[38:39], v[36:37]
	s_delay_alu instid0(VALU_DEP_1) | instskip(NEXT) | instid1(VALU_DEP_1)
	v_lshrrev_b64 v[36:37], 30, v[36:37]
	v_mul_u64_e32 v[36:37], 0x7fffffff, v[36:37]
	s_delay_alu instid0(VALU_DEP_1)
	v_sub_nc_u64_e32 v[6:7], v[6:7], v[36:37]
	s_branch .LBB27_528
.LBB27_531:
	s_or_b32 exec_lo, exec_lo, s13
	v_add_min_u32_e64 v1, 0x80000001, v6, v6
	s_delay_alu instid0(VALU_DEP_1)
	v_add_min_u32_e64 v1, 0x80000001, v1, v1
.LBB27_532:
	s_or_b32 exec_lo, exec_lo, s12
	v_mov_b32_e32 v36, 0
	s_movk_i32 s3, 0x1388
	s_brev_b32 s2, 12
.LBB27_533:                             ; =>This Inner Loop Header: Depth=1
	v_mul_hi_u32 v2, 0xbc8f1391, v1
	s_delay_alu instid0(VALU_DEP_1) | instskip(NEXT) | instid1(VALU_DEP_1)
	v_lshrrev_b32_e32 v2, 15, v2
	v_mul_u32_u24_e32 v3, 0xadc8, v2
	s_delay_alu instid0(VALU_DEP_1) | instskip(SKIP_1) | instid1(VALU_DEP_2)
	v_sub_nc_u32_e32 v1, v1, v3
	v_mul_u32_u24_e32 v2, 0xd47, v2
	v_mul_lo_u32 v1, 0xbc8f, v1
	s_delay_alu instid0(VALU_DEP_2) | instskip(SKIP_1) | instid1(VALU_DEP_3)
	v_xor_b32_e32 v3, 0x7fffffff, v2
	v_sub_nc_u32_e32 v4, 0, v2
	v_cmp_lt_u32_e32 vcc_lo, v1, v2
	s_delay_alu instid0(VALU_DEP_2) | instskip(NEXT) | instid1(VALU_DEP_1)
	v_cndmask_b32_e32 v2, v4, v3, vcc_lo
	v_add_nc_u32_e32 v1, v2, v1
	s_delay_alu instid0(VALU_DEP_1) | instskip(NEXT) | instid1(VALU_DEP_1)
	v_mul_hi_u32 v2, 0xbc8f1391, v1
	v_lshrrev_b32_e32 v2, 15, v2
	s_delay_alu instid0(VALU_DEP_1) | instskip(SKIP_1) | instid1(VALU_DEP_2)
	v_mul_u32_u24_e32 v3, 0xadc8, v2
	v_mul_u32_u24_e32 v2, 0xd47, v2
	v_sub_nc_u32_e32 v3, v1, v3
	s_delay_alu instid0(VALU_DEP_2) | instskip(SKIP_1) | instid1(VALU_DEP_3)
	v_xor_b32_e32 v4, 0x7fffffff, v2
	v_add_nc_u32_e32 v1, -1, v1
	v_mul_lo_u32 v3, 0xbc8f, v3
	v_sub_nc_u32_e32 v5, 0, v2
	s_delay_alu instid0(VALU_DEP_2) | instskip(NEXT) | instid1(VALU_DEP_2)
	v_cmp_lt_u32_e32 vcc_lo, v3, v2
	v_cndmask_b32_e32 v2, v5, v4, vcc_lo
	s_delay_alu instid0(VALU_DEP_1) | instskip(NEXT) | instid1(VALU_DEP_1)
	v_add_nc_u32_e32 v3, v2, v3
	v_mul_hi_u32 v2, 0xbc8f1391, v3
	s_delay_alu instid0(VALU_DEP_1) | instskip(NEXT) | instid1(VALU_DEP_1)
	v_lshrrev_b32_e32 v2, 15, v2
	v_mul_u32_u24_e32 v4, 0xadc8, v2
	v_mul_u32_u24_e32 v2, 0xd47, v2
	s_delay_alu instid0(VALU_DEP_2) | instskip(NEXT) | instid1(VALU_DEP_2)
	v_sub_nc_u32_e32 v4, v3, v4
	v_xor_b32_e32 v5, 0x7fffffff, v2
	s_delay_alu instid0(VALU_DEP_2) | instskip(SKIP_1) | instid1(VALU_DEP_2)
	v_mul_lo_u32 v4, 0xbc8f, v4
	v_sub_nc_u32_e32 v6, 0, v2
	v_cmp_lt_u32_e32 vcc_lo, v4, v2
	s_delay_alu instid0(VALU_DEP_2) | instskip(NEXT) | instid1(VALU_DEP_1)
	v_dual_cndmask_b32 v2, v6, v5, vcc_lo :: v_dual_add_f32 v6, 1.0, v36
	v_add_nc_u32_e32 v4, v2, v4
	s_delay_alu instid0(VALU_DEP_1) | instskip(NEXT) | instid1(VALU_DEP_1)
	v_mul_hi_u32 v2, 0xbc8f1391, v4
	v_lshrrev_b32_e32 v2, 15, v2
	s_delay_alu instid0(VALU_DEP_1) | instskip(SKIP_2) | instid1(VALU_DEP_3)
	v_mul_u32_u24_e32 v5, 0xadc8, v2
	v_mul_u32_u24_e32 v7, 0xd47, v2
	v_cvt_f32_u32_e32 v2, v1
	v_sub_nc_u32_e32 v5, v4, v5
	s_delay_alu instid0(VALU_DEP_3) | instskip(SKIP_1) | instid1(VALU_DEP_3)
	v_xor_b32_e32 v1, 0x7fffffff, v7
	v_dual_sub_nc_u32 v37, 0, v7 :: v_dual_add_nc_u32 v4, -1, v4
	v_mul_lo_u32 v5, 0xbc8f, v5
	s_delay_alu instid0(VALU_DEP_2) | instskip(NEXT) | instid1(VALU_DEP_2)
	v_cvt_f32_u32_e32 v4, v4
	v_cmp_lt_u32_e32 vcc_lo, v5, v7
	s_delay_alu instid0(VALU_DEP_4) | instskip(NEXT) | instid1(VALU_DEP_1)
	v_dual_add_nc_u32 v3, -1, v3 :: v_dual_cndmask_b32 v1, v37, v1, vcc_lo
	v_cvt_f32_u32_e32 v3, v3
	s_delay_alu instid0(VALU_DEP_2) | instskip(NEXT) | instid1(VALU_DEP_2)
	v_add_nc_u32_e32 v1, v1, v5
	v_pk_fma_f32 v[2:3], v[2:3], s[2:3], 0 op_sel_hi:[1,0,0]
	s_delay_alu instid0(VALU_DEP_1) | instskip(NEXT) | instid1(VALU_DEP_1)
	v_pk_mul_f32 v[2:3], v[2:3], v[2:3]
	v_dual_add_nc_u32 v5, -1, v1 :: v_dual_add_f32 v7, v2, v3
	s_delay_alu instid0(VALU_DEP_1) | instskip(NEXT) | instid1(VALU_DEP_2)
	v_cvt_f32_u32_e32 v5, v5
	v_cmp_gt_f32_e32 vcc_lo, 0xf800000, v7
	s_delay_alu instid0(VALU_DEP_2) | instskip(SKIP_1) | instid1(SALU_CYCLE_1)
	v_pk_fma_f32 v[2:3], v[4:5], s[2:3], 0 op_sel_hi:[1,0,0]
	s_add_co_i32 s3, s3, -2
	s_cmp_lg_u32 s3, 0
	s_delay_alu instid0(VALU_DEP_1) | instskip(NEXT) | instid1(VALU_DEP_1)
	v_pk_mul_f32 v[2:3], v[2:3], v[2:3]
	v_add_f32_e32 v2, v2, v3
	s_delay_alu instid0(VALU_DEP_1) | instskip(NEXT) | instid1(VALU_DEP_1)
	v_dual_mul_f32 v4, 0x4f800000, v7 :: v_dual_mul_f32 v5, 0x4f800000, v2
	v_cndmask_b32_e32 v4, v7, v4, vcc_lo
	v_cmp_gt_f32_e64 s0, 0xf800000, v2
	s_delay_alu instid0(VALU_DEP_2) | instskip(SKIP_1) | instid1(TRANS32_DEP_1)
	v_sqrt_f32_e32 v3, v4
	v_nop
	v_dual_add_nc_u32 v7, -1, v3 :: v_dual_cndmask_b32 v2, v2, v5, s0
	s_delay_alu instid0(VALU_DEP_1) | instskip(NEXT) | instid1(VALU_DEP_2)
	v_dual_add_nc_u32 v5, 1, v3 :: v_dual_fma_f32 v37, -v7, v3, v4
	v_sqrt_f32_e32 v38, v2
	s_delay_alu instid0(VALU_DEP_1) | instskip(NEXT) | instid1(VALU_DEP_2)
	v_fma_f32 v39, -v5, v3, v4
	v_cmp_ge_f32_e64 s1, 0, v37
	s_delay_alu instid0(TRANS32_DEP_1) | instid1(VALU_DEP_1)
	v_dual_cndmask_b32 v3, v3, v7, s1 :: v_dual_add_nc_u32 v7, -1, v38
	s_delay_alu instid0(VALU_DEP_3) | instskip(NEXT) | instid1(VALU_DEP_2)
	v_cmp_lt_f32_e64 s1, 0, v39
	v_fma_f32 v37, -v7, v38, v2
	s_delay_alu instid0(VALU_DEP_2) | instskip(NEXT) | instid1(VALU_DEP_2)
	v_dual_cndmask_b32 v3, v3, v5, s1 :: v_dual_add_nc_u32 v5, 1, v38
	v_cmp_ge_f32_e64 s1, 0, v37
	s_delay_alu instid0(VALU_DEP_1) | instskip(NEXT) | instid1(VALU_DEP_1)
	v_dual_fma_f32 v48, -v5, v38, v2 :: v_dual_cndmask_b32 v7, v38, v7, s1
	v_cmp_lt_f32_e64 s1, 0, v48
	s_delay_alu instid0(VALU_DEP_1) | instskip(SKIP_1) | instid1(VALU_DEP_1)
	v_cndmask_b32_e64 v5, v7, v5, s1
	v_mul_f32_e32 v39, 0x37800000, v3
	v_cndmask_b32_e32 v3, v3, v39, vcc_lo
	v_cmp_class_f32_e64 vcc_lo, v4, 0x260
	s_delay_alu instid0(VALU_DEP_2) | instskip(NEXT) | instid1(VALU_DEP_1)
	v_cndmask_b32_e32 v3, v3, v4, vcc_lo
	v_cmp_nge_f32_e32 vcc_lo, 1.0, v3
	v_dual_cndmask_b32 v3, v6, v36 :: v_dual_mul_f32 v4, 0x37800000, v5
	v_cmp_class_f32_e64 vcc_lo, v2, 0x260
	s_delay_alu instid0(VALU_DEP_2) | instskip(NEXT) | instid1(VALU_DEP_1)
	v_dual_cndmask_b32 v4, v5, v4, s0 :: v_dual_add_f32 v5, 1.0, v3
	v_cndmask_b32_e32 v2, v4, v2, vcc_lo
	s_delay_alu instid0(VALU_DEP_1) | instskip(NEXT) | instid1(VALU_DEP_3)
	v_cmp_nge_f32_e32 vcc_lo, 1.0, v2
	v_cndmask_b32_e32 v36, v5, v3, vcc_lo
	s_cbranch_scc1 .LBB27_533
; %bb.534:
	v_dual_mov_b32 v1, 1 :: v_dual_add_nc_u32 v2, 0x1e84800, v0
	s_mov_b32 s1, 0
	s_mov_b32 s12, exec_lo
	s_delay_alu instid0(VALU_DEP_1)
	v_cmpx_ne_u32_e32 0, v2
	s_cbranch_execz .LBB27_540
; %bb.535:
	v_mov_b32_e32 v3, 0
	v_mov_b64_e32 v[6:7], 1
	s_mov_b64 s[8:9], 0xbc8f
	s_mov_b64 s[2:3], 0xfffffffd
	;; [unrolled: 1-line block ×3, first 2 shown]
	v_mov_b64_e32 v[4:5], v[2:3]
	s_mov_b64 s[6:7], 0x80000001
	s_mov_b32 s13, 0
	s_branch .LBB27_537
.LBB27_536:                             ;   in Loop: Header=BB27_537 Depth=1
	s_or_b32 exec_lo, exec_lo, s0
	s_mul_u64 s[8:9], s[8:9], s[8:9]
	s_mov_b32 s15, s1
	s_and_b64 s[16:17], s[8:9], s[2:3]
	s_mov_b32 s0, s9
	s_mul_u64 s[18:19], s[16:17], 3
	s_mul_u64 s[20:21], s[0:1], 3
	s_mov_b32 s14, s19
	s_mul_u64 s[16:17], s[16:17], s[6:7]
	s_add_nc_u64 s[14:15], s[20:21], s[14:15]
	v_lshrrev_b64 v[38:39], 1, v[4:5]
	s_and_b64 s[20:21], s[14:15], s[4:5]
	s_mov_b32 s19, s1
	s_add_nc_u64 s[16:17], s[16:17], s[20:21]
	s_mov_b32 s23, s1
	s_mov_b32 s18, s15
	s_mov_b32 s22, s17
	s_mul_u64 s[16:17], s[0:1], s[6:7]
	s_add_nc_u64 s[14:15], s[18:19], s[22:23]
	v_cmp_gt_u64_e32 vcc_lo, 2, v[4:5]
	s_add_nc_u64 s[14:15], s[16:17], s[14:15]
	v_mov_b64_e32 v[4:5], v[38:39]
	s_lshr_b64 s[14:15], s[14:15], 30
	s_delay_alu instid0(SALU_CYCLE_1)
	s_mul_u64 s[14:15], s[14:15], 0x7fffffff
	s_or_b32 s13, vcc_lo, s13
	s_sub_nc_u64 s[8:9], s[8:9], s[14:15]
	s_and_not1_b32 exec_lo, exec_lo, s13
	s_cbranch_execz .LBB27_539
.LBB27_537:                             ; =>This Inner Loop Header: Depth=1
	s_delay_alu instid0(VALU_DEP_1) | instskip(SKIP_1) | instid1(VALU_DEP_1)
	v_and_b32_e32 v1, 1, v4
	s_mov_b32 s0, exec_lo
	v_cmpx_eq_u32_e32 1, v1
	s_cbranch_execz .LBB27_536
; %bb.538:                              ;   in Loop: Header=BB27_537 Depth=1
	v_mul_u64_e32 v[6:7], s[8:9], v[6:7]
	s_delay_alu instid0(VALU_DEP_1) | instskip(NEXT) | instid1(VALU_DEP_1)
	v_mov_b32_e32 v2, v6
	v_mul_u64_e32 v[38:39], 5, v[2:3]
	s_delay_alu instid0(VALU_DEP_1) | instskip(NEXT) | instid1(VALU_DEP_1)
	v_mov_b32_e32 v2, v39
	v_mad_nc_u64_u32 v[38:39], v7, 5, v[2:3]
	s_delay_alu instid0(VALU_DEP_1) | instskip(NEXT) | instid1(VALU_DEP_1)
	v_dual_mov_b32 v2, v39 :: v_dual_mov_b32 v39, v3
	v_mad_nc_u64_u32 v[38:39], v6, 2, v[38:39]
	s_delay_alu instid0(VALU_DEP_1) | instskip(NEXT) | instid1(VALU_DEP_1)
	v_dual_mov_b32 v38, v39 :: v_dual_mov_b32 v39, v3
	v_add_nc_u64_e32 v[38:39], v[2:3], v[38:39]
	s_delay_alu instid0(VALU_DEP_1) | instskip(NEXT) | instid1(VALU_DEP_1)
	v_mad_nc_u64_u32 v[38:39], v7, 2, v[38:39]
	v_sub_nc_u64_e32 v[48:49], v[6:7], v[38:39]
	s_delay_alu instid0(VALU_DEP_1) | instskip(NEXT) | instid1(VALU_DEP_1)
	v_lshrrev_b64 v[48:49], 1, v[48:49]
	v_add_nc_u64_e32 v[38:39], v[48:49], v[38:39]
	s_delay_alu instid0(VALU_DEP_1) | instskip(NEXT) | instid1(VALU_DEP_1)
	v_lshrrev_b64 v[38:39], 30, v[38:39]
	v_mul_u64_e32 v[38:39], 0x7fffffff, v[38:39]
	s_delay_alu instid0(VALU_DEP_1)
	v_sub_nc_u64_e32 v[6:7], v[6:7], v[38:39]
	s_branch .LBB27_536
.LBB27_539:
	s_or_b32 exec_lo, exec_lo, s13
	v_add_min_u32_e64 v1, 0x80000001, v6, v6
	s_delay_alu instid0(VALU_DEP_1)
	v_add_min_u32_e64 v1, 0x80000001, v1, v1
.LBB27_540:
	s_or_b32 exec_lo, exec_lo, s12
	v_mov_b32_e32 v37, 0
	s_movk_i32 s3, 0x1388
	s_brev_b32 s2, 12
.LBB27_541:                             ; =>This Inner Loop Header: Depth=1
	v_mul_hi_u32 v2, 0xbc8f1391, v1
	s_delay_alu instid0(VALU_DEP_1) | instskip(NEXT) | instid1(VALU_DEP_1)
	v_lshrrev_b32_e32 v2, 15, v2
	v_mul_u32_u24_e32 v3, 0xadc8, v2
	s_delay_alu instid0(VALU_DEP_1) | instskip(SKIP_1) | instid1(VALU_DEP_2)
	v_sub_nc_u32_e32 v1, v1, v3
	v_mul_u32_u24_e32 v2, 0xd47, v2
	v_mul_lo_u32 v1, 0xbc8f, v1
	s_delay_alu instid0(VALU_DEP_2) | instskip(SKIP_1) | instid1(VALU_DEP_3)
	v_xor_b32_e32 v3, 0x7fffffff, v2
	v_sub_nc_u32_e32 v4, 0, v2
	v_cmp_lt_u32_e32 vcc_lo, v1, v2
	s_delay_alu instid0(VALU_DEP_2) | instskip(NEXT) | instid1(VALU_DEP_1)
	v_cndmask_b32_e32 v2, v4, v3, vcc_lo
	v_add_nc_u32_e32 v1, v2, v1
	s_delay_alu instid0(VALU_DEP_1) | instskip(NEXT) | instid1(VALU_DEP_1)
	v_mul_hi_u32 v2, 0xbc8f1391, v1
	v_lshrrev_b32_e32 v2, 15, v2
	s_delay_alu instid0(VALU_DEP_1) | instskip(SKIP_1) | instid1(VALU_DEP_2)
	v_mul_u32_u24_e32 v3, 0xadc8, v2
	v_mul_u32_u24_e32 v2, 0xd47, v2
	v_sub_nc_u32_e32 v3, v1, v3
	s_delay_alu instid0(VALU_DEP_2) | instskip(SKIP_1) | instid1(VALU_DEP_3)
	v_xor_b32_e32 v4, 0x7fffffff, v2
	v_add_nc_u32_e32 v1, -1, v1
	v_mul_lo_u32 v3, 0xbc8f, v3
	v_sub_nc_u32_e32 v5, 0, v2
	s_delay_alu instid0(VALU_DEP_2) | instskip(NEXT) | instid1(VALU_DEP_2)
	v_cmp_lt_u32_e32 vcc_lo, v3, v2
	v_cndmask_b32_e32 v2, v5, v4, vcc_lo
	s_delay_alu instid0(VALU_DEP_1) | instskip(NEXT) | instid1(VALU_DEP_1)
	v_add_nc_u32_e32 v3, v2, v3
	v_mul_hi_u32 v2, 0xbc8f1391, v3
	s_delay_alu instid0(VALU_DEP_1) | instskip(NEXT) | instid1(VALU_DEP_1)
	v_lshrrev_b32_e32 v2, 15, v2
	v_mul_u32_u24_e32 v4, 0xadc8, v2
	v_mul_u32_u24_e32 v2, 0xd47, v2
	s_delay_alu instid0(VALU_DEP_2) | instskip(NEXT) | instid1(VALU_DEP_2)
	v_sub_nc_u32_e32 v4, v3, v4
	v_xor_b32_e32 v5, 0x7fffffff, v2
	s_delay_alu instid0(VALU_DEP_2) | instskip(SKIP_1) | instid1(VALU_DEP_2)
	v_mul_lo_u32 v4, 0xbc8f, v4
	v_sub_nc_u32_e32 v6, 0, v2
	v_cmp_lt_u32_e32 vcc_lo, v4, v2
	s_delay_alu instid0(VALU_DEP_2) | instskip(NEXT) | instid1(VALU_DEP_1)
	v_cndmask_b32_e32 v2, v6, v5, vcc_lo
	v_dual_add_f32 v6, 1.0, v37 :: v_dual_add_nc_u32 v4, v2, v4
	s_delay_alu instid0(VALU_DEP_1) | instskip(NEXT) | instid1(VALU_DEP_1)
	v_mul_hi_u32 v2, 0xbc8f1391, v4
	v_lshrrev_b32_e32 v2, 15, v2
	s_delay_alu instid0(VALU_DEP_1) | instskip(SKIP_2) | instid1(VALU_DEP_3)
	v_mul_u32_u24_e32 v5, 0xadc8, v2
	v_mul_u32_u24_e32 v7, 0xd47, v2
	v_cvt_f32_u32_e32 v2, v1
	v_sub_nc_u32_e32 v5, v4, v5
	s_delay_alu instid0(VALU_DEP_3) | instskip(SKIP_1) | instid1(VALU_DEP_3)
	v_xor_b32_e32 v1, 0x7fffffff, v7
	v_dual_sub_nc_u32 v38, 0, v7 :: v_dual_add_nc_u32 v4, -1, v4
	v_mul_lo_u32 v5, 0xbc8f, v5
	s_delay_alu instid0(VALU_DEP_2) | instskip(NEXT) | instid1(VALU_DEP_2)
	v_cvt_f32_u32_e32 v4, v4
	v_cmp_lt_u32_e32 vcc_lo, v5, v7
	s_delay_alu instid0(VALU_DEP_4) | instskip(NEXT) | instid1(VALU_DEP_1)
	v_dual_add_nc_u32 v3, -1, v3 :: v_dual_cndmask_b32 v1, v38, v1, vcc_lo
	v_cvt_f32_u32_e32 v3, v3
	s_delay_alu instid0(VALU_DEP_2) | instskip(NEXT) | instid1(VALU_DEP_2)
	v_add_nc_u32_e32 v1, v1, v5
	v_pk_fma_f32 v[2:3], v[2:3], s[2:3], 0 op_sel_hi:[1,0,0]
	s_delay_alu instid0(VALU_DEP_1) | instskip(NEXT) | instid1(VALU_DEP_1)
	v_pk_mul_f32 v[2:3], v[2:3], v[2:3]
	v_dual_add_nc_u32 v5, -1, v1 :: v_dual_add_f32 v7, v2, v3
	s_delay_alu instid0(VALU_DEP_1) | instskip(NEXT) | instid1(VALU_DEP_2)
	v_cvt_f32_u32_e32 v5, v5
	v_cmp_gt_f32_e32 vcc_lo, 0xf800000, v7
	s_delay_alu instid0(VALU_DEP_2) | instskip(SKIP_1) | instid1(SALU_CYCLE_1)
	v_pk_fma_f32 v[2:3], v[4:5], s[2:3], 0 op_sel_hi:[1,0,0]
	s_add_co_i32 s3, s3, -2
	s_cmp_lg_u32 s3, 0
	s_delay_alu instid0(VALU_DEP_1) | instskip(NEXT) | instid1(VALU_DEP_1)
	v_pk_mul_f32 v[2:3], v[2:3], v[2:3]
	v_add_f32_e32 v2, v2, v3
	s_delay_alu instid0(VALU_DEP_1) | instskip(NEXT) | instid1(VALU_DEP_1)
	v_dual_mul_f32 v4, 0x4f800000, v7 :: v_dual_mul_f32 v5, 0x4f800000, v2
	v_cndmask_b32_e32 v4, v7, v4, vcc_lo
	v_cmp_gt_f32_e64 s0, 0xf800000, v2
	s_delay_alu instid0(VALU_DEP_2) | instskip(SKIP_1) | instid1(TRANS32_DEP_1)
	v_sqrt_f32_e32 v3, v4
	v_nop
	v_dual_add_nc_u32 v7, -1, v3 :: v_dual_cndmask_b32 v2, v2, v5, s0
	s_delay_alu instid0(VALU_DEP_1) | instskip(NEXT) | instid1(VALU_DEP_2)
	v_dual_add_nc_u32 v5, 1, v3 :: v_dual_fma_f32 v38, -v7, v3, v4
	v_sqrt_f32_e32 v39, v2
	s_delay_alu instid0(VALU_DEP_1) | instskip(NEXT) | instid1(VALU_DEP_2)
	v_fma_f32 v48, -v5, v3, v4
	v_cmp_ge_f32_e64 s1, 0, v38
	s_delay_alu instid0(VALU_DEP_1) | instskip(NEXT) | instid1(VALU_DEP_3)
	v_cndmask_b32_e64 v3, v3, v7, s1
	v_cmp_lt_f32_e64 s1, 0, v48
	s_delay_alu instid0(TRANS32_DEP_1) | instid1(VALU_DEP_1)
	v_dual_add_nc_u32 v7, -1, v39 :: v_dual_cndmask_b32 v3, v3, v5, s1
	s_delay_alu instid0(VALU_DEP_1) | instskip(NEXT) | instid1(VALU_DEP_2)
	v_dual_add_nc_u32 v5, 1, v39 :: v_dual_fma_f32 v38, -v7, v39, v2
	v_mul_f32_e32 v48, 0x37800000, v3
	s_delay_alu instid0(VALU_DEP_2) | instskip(NEXT) | instid1(VALU_DEP_3)
	v_fma_f32 v49, -v5, v39, v2
	v_cmp_ge_f32_e64 s1, 0, v38
	s_delay_alu instid0(VALU_DEP_3) | instskip(SKIP_1) | instid1(VALU_DEP_2)
	v_cndmask_b32_e32 v3, v3, v48, vcc_lo
	v_cmp_class_f32_e64 vcc_lo, v4, 0x260
	v_cndmask_b32_e32 v3, v3, v4, vcc_lo
	s_delay_alu instid0(VALU_DEP_1) | instskip(SKIP_4) | instid1(VALU_DEP_3)
	v_cmp_nge_f32_e32 vcc_lo, 1.0, v3
	v_cndmask_b32_e64 v7, v39, v7, s1
	v_cmp_lt_f32_e64 s1, 0, v49
	v_cndmask_b32_e32 v3, v6, v37, vcc_lo
	v_cmp_class_f32_e64 vcc_lo, v2, 0x260
	v_cndmask_b32_e64 v5, v7, v5, s1
	s_delay_alu instid0(VALU_DEP_1) | instskip(NEXT) | instid1(VALU_DEP_1)
	v_mul_f32_e32 v4, 0x37800000, v5
	v_dual_cndmask_b32 v4, v5, v4, s0 :: v_dual_add_f32 v5, 1.0, v3
	s_delay_alu instid0(VALU_DEP_1) | instskip(NEXT) | instid1(VALU_DEP_1)
	v_cndmask_b32_e32 v2, v4, v2, vcc_lo
	v_cmp_nge_f32_e32 vcc_lo, 1.0, v2
	s_delay_alu instid0(VALU_DEP_3)
	v_cndmask_b32_e32 v37, v5, v3, vcc_lo
	s_cbranch_scc1 .LBB27_541
; %bb.542:
	v_dual_mov_b32 v1, 1 :: v_dual_add_nc_u32 v2, 0x1fbd000, v0
	s_mov_b32 s1, 0
	s_mov_b32 s12, exec_lo
	s_delay_alu instid0(VALU_DEP_1)
	v_cmpx_ne_u32_e32 0, v2
	s_cbranch_execz .LBB27_548
; %bb.543:
	v_mov_b32_e32 v3, 0
	v_mov_b64_e32 v[6:7], 1
	s_mov_b64 s[8:9], 0xbc8f
	s_mov_b64 s[2:3], 0xfffffffd
	;; [unrolled: 1-line block ×3, first 2 shown]
	v_mov_b64_e32 v[4:5], v[2:3]
	s_mov_b64 s[6:7], 0x80000001
	s_mov_b32 s13, 0
	s_branch .LBB27_545
.LBB27_544:                             ;   in Loop: Header=BB27_545 Depth=1
	s_or_b32 exec_lo, exec_lo, s0
	s_mul_u64 s[8:9], s[8:9], s[8:9]
	s_mov_b32 s15, s1
	s_and_b64 s[16:17], s[8:9], s[2:3]
	s_mov_b32 s0, s9
	s_mul_u64 s[18:19], s[16:17], 3
	s_mul_u64 s[20:21], s[0:1], 3
	s_mov_b32 s14, s19
	s_mul_u64 s[16:17], s[16:17], s[6:7]
	s_add_nc_u64 s[14:15], s[20:21], s[14:15]
	v_lshrrev_b64 v[38:39], 1, v[4:5]
	s_and_b64 s[20:21], s[14:15], s[4:5]
	s_mov_b32 s19, s1
	s_add_nc_u64 s[16:17], s[16:17], s[20:21]
	s_mov_b32 s23, s1
	s_mov_b32 s18, s15
	;; [unrolled: 1-line block ×3, first 2 shown]
	s_mul_u64 s[16:17], s[0:1], s[6:7]
	s_add_nc_u64 s[14:15], s[18:19], s[22:23]
	v_cmp_gt_u64_e32 vcc_lo, 2, v[4:5]
	s_add_nc_u64 s[14:15], s[16:17], s[14:15]
	v_mov_b64_e32 v[4:5], v[38:39]
	s_lshr_b64 s[14:15], s[14:15], 30
	s_delay_alu instid0(SALU_CYCLE_1)
	s_mul_u64 s[14:15], s[14:15], 0x7fffffff
	s_or_b32 s13, vcc_lo, s13
	s_sub_nc_u64 s[8:9], s[8:9], s[14:15]
	s_and_not1_b32 exec_lo, exec_lo, s13
	s_cbranch_execz .LBB27_547
.LBB27_545:                             ; =>This Inner Loop Header: Depth=1
	s_delay_alu instid0(VALU_DEP_1) | instskip(SKIP_1) | instid1(VALU_DEP_1)
	v_and_b32_e32 v1, 1, v4
	s_mov_b32 s0, exec_lo
	v_cmpx_eq_u32_e32 1, v1
	s_cbranch_execz .LBB27_544
; %bb.546:                              ;   in Loop: Header=BB27_545 Depth=1
	v_mul_u64_e32 v[6:7], s[8:9], v[6:7]
	s_delay_alu instid0(VALU_DEP_1) | instskip(NEXT) | instid1(VALU_DEP_1)
	v_mov_b32_e32 v2, v6
	v_mul_u64_e32 v[38:39], 5, v[2:3]
	s_delay_alu instid0(VALU_DEP_1) | instskip(NEXT) | instid1(VALU_DEP_1)
	v_mov_b32_e32 v2, v39
	v_mad_nc_u64_u32 v[38:39], v7, 5, v[2:3]
	s_delay_alu instid0(VALU_DEP_1) | instskip(NEXT) | instid1(VALU_DEP_1)
	v_dual_mov_b32 v2, v39 :: v_dual_mov_b32 v39, v3
	v_mad_nc_u64_u32 v[38:39], v6, 2, v[38:39]
	s_delay_alu instid0(VALU_DEP_1) | instskip(NEXT) | instid1(VALU_DEP_1)
	v_dual_mov_b32 v38, v39 :: v_dual_mov_b32 v39, v3
	v_add_nc_u64_e32 v[38:39], v[2:3], v[38:39]
	s_delay_alu instid0(VALU_DEP_1) | instskip(NEXT) | instid1(VALU_DEP_1)
	v_mad_nc_u64_u32 v[38:39], v7, 2, v[38:39]
	v_sub_nc_u64_e32 v[48:49], v[6:7], v[38:39]
	s_delay_alu instid0(VALU_DEP_1) | instskip(NEXT) | instid1(VALU_DEP_1)
	v_lshrrev_b64 v[48:49], 1, v[48:49]
	v_add_nc_u64_e32 v[38:39], v[48:49], v[38:39]
	s_delay_alu instid0(VALU_DEP_1) | instskip(NEXT) | instid1(VALU_DEP_1)
	v_lshrrev_b64 v[38:39], 30, v[38:39]
	v_mul_u64_e32 v[38:39], 0x7fffffff, v[38:39]
	s_delay_alu instid0(VALU_DEP_1)
	v_sub_nc_u64_e32 v[6:7], v[6:7], v[38:39]
	s_branch .LBB27_544
.LBB27_547:
	s_or_b32 exec_lo, exec_lo, s13
	v_add_min_u32_e64 v1, 0x80000001, v6, v6
	s_delay_alu instid0(VALU_DEP_1)
	v_add_min_u32_e64 v1, 0x80000001, v1, v1
.LBB27_548:
	s_or_b32 exec_lo, exec_lo, s12
	v_mov_b32_e32 v38, 0
	s_movk_i32 s3, 0x1388
	s_brev_b32 s2, 12
.LBB27_549:                             ; =>This Inner Loop Header: Depth=1
	v_mul_hi_u32 v2, 0xbc8f1391, v1
	s_delay_alu instid0(VALU_DEP_1) | instskip(NEXT) | instid1(VALU_DEP_1)
	v_lshrrev_b32_e32 v2, 15, v2
	v_mul_u32_u24_e32 v3, 0xadc8, v2
	s_delay_alu instid0(VALU_DEP_1) | instskip(SKIP_1) | instid1(VALU_DEP_2)
	v_sub_nc_u32_e32 v1, v1, v3
	v_mul_u32_u24_e32 v2, 0xd47, v2
	v_mul_lo_u32 v1, 0xbc8f, v1
	s_delay_alu instid0(VALU_DEP_2) | instskip(SKIP_1) | instid1(VALU_DEP_3)
	v_xor_b32_e32 v3, 0x7fffffff, v2
	v_sub_nc_u32_e32 v4, 0, v2
	v_cmp_lt_u32_e32 vcc_lo, v1, v2
	s_delay_alu instid0(VALU_DEP_2) | instskip(NEXT) | instid1(VALU_DEP_1)
	v_cndmask_b32_e32 v2, v4, v3, vcc_lo
	v_add_nc_u32_e32 v1, v2, v1
	s_delay_alu instid0(VALU_DEP_1) | instskip(NEXT) | instid1(VALU_DEP_1)
	v_mul_hi_u32 v2, 0xbc8f1391, v1
	v_lshrrev_b32_e32 v2, 15, v2
	s_delay_alu instid0(VALU_DEP_1) | instskip(SKIP_1) | instid1(VALU_DEP_2)
	v_mul_u32_u24_e32 v3, 0xadc8, v2
	v_mul_u32_u24_e32 v2, 0xd47, v2
	v_sub_nc_u32_e32 v3, v1, v3
	s_delay_alu instid0(VALU_DEP_2) | instskip(SKIP_1) | instid1(VALU_DEP_3)
	v_xor_b32_e32 v4, 0x7fffffff, v2
	v_add_nc_u32_e32 v1, -1, v1
	v_mul_lo_u32 v3, 0xbc8f, v3
	v_sub_nc_u32_e32 v5, 0, v2
	s_delay_alu instid0(VALU_DEP_2) | instskip(NEXT) | instid1(VALU_DEP_2)
	v_cmp_lt_u32_e32 vcc_lo, v3, v2
	v_cndmask_b32_e32 v2, v5, v4, vcc_lo
	s_delay_alu instid0(VALU_DEP_1) | instskip(NEXT) | instid1(VALU_DEP_1)
	v_add_nc_u32_e32 v3, v2, v3
	v_mul_hi_u32 v2, 0xbc8f1391, v3
	s_delay_alu instid0(VALU_DEP_1) | instskip(NEXT) | instid1(VALU_DEP_1)
	v_lshrrev_b32_e32 v2, 15, v2
	v_mul_u32_u24_e32 v4, 0xadc8, v2
	v_mul_u32_u24_e32 v2, 0xd47, v2
	s_delay_alu instid0(VALU_DEP_2) | instskip(NEXT) | instid1(VALU_DEP_2)
	v_sub_nc_u32_e32 v4, v3, v4
	v_xor_b32_e32 v5, 0x7fffffff, v2
	s_delay_alu instid0(VALU_DEP_2) | instskip(SKIP_1) | instid1(VALU_DEP_2)
	v_mul_lo_u32 v4, 0xbc8f, v4
	v_sub_nc_u32_e32 v6, 0, v2
	v_cmp_lt_u32_e32 vcc_lo, v4, v2
	s_delay_alu instid0(VALU_DEP_2) | instskip(NEXT) | instid1(VALU_DEP_1)
	v_dual_cndmask_b32 v2, v6, v5, vcc_lo :: v_dual_add_f32 v6, 1.0, v38
	v_add_nc_u32_e32 v4, v2, v4
	s_delay_alu instid0(VALU_DEP_1) | instskip(NEXT) | instid1(VALU_DEP_1)
	v_mul_hi_u32 v2, 0xbc8f1391, v4
	v_lshrrev_b32_e32 v2, 15, v2
	s_delay_alu instid0(VALU_DEP_1) | instskip(SKIP_2) | instid1(VALU_DEP_3)
	v_mul_u32_u24_e32 v5, 0xadc8, v2
	v_mul_u32_u24_e32 v7, 0xd47, v2
	v_cvt_f32_u32_e32 v2, v1
	v_sub_nc_u32_e32 v5, v4, v5
	s_delay_alu instid0(VALU_DEP_3) | instskip(SKIP_1) | instid1(VALU_DEP_3)
	v_xor_b32_e32 v1, 0x7fffffff, v7
	v_dual_sub_nc_u32 v39, 0, v7 :: v_dual_add_nc_u32 v4, -1, v4
	v_mul_lo_u32 v5, 0xbc8f, v5
	s_delay_alu instid0(VALU_DEP_2) | instskip(NEXT) | instid1(VALU_DEP_2)
	v_cvt_f32_u32_e32 v4, v4
	v_cmp_lt_u32_e32 vcc_lo, v5, v7
	s_delay_alu instid0(VALU_DEP_4) | instskip(NEXT) | instid1(VALU_DEP_1)
	v_dual_add_nc_u32 v3, -1, v3 :: v_dual_cndmask_b32 v1, v39, v1, vcc_lo
	v_cvt_f32_u32_e32 v3, v3
	s_delay_alu instid0(VALU_DEP_2) | instskip(NEXT) | instid1(VALU_DEP_2)
	v_add_nc_u32_e32 v1, v1, v5
	v_pk_fma_f32 v[2:3], v[2:3], s[2:3], 0 op_sel_hi:[1,0,0]
	s_delay_alu instid0(VALU_DEP_1) | instskip(NEXT) | instid1(VALU_DEP_1)
	v_pk_mul_f32 v[2:3], v[2:3], v[2:3]
	v_dual_add_nc_u32 v5, -1, v1 :: v_dual_add_f32 v7, v2, v3
	s_delay_alu instid0(VALU_DEP_1) | instskip(NEXT) | instid1(VALU_DEP_2)
	v_cvt_f32_u32_e32 v5, v5
	v_cmp_gt_f32_e32 vcc_lo, 0xf800000, v7
	s_delay_alu instid0(VALU_DEP_2) | instskip(SKIP_1) | instid1(SALU_CYCLE_1)
	v_pk_fma_f32 v[2:3], v[4:5], s[2:3], 0 op_sel_hi:[1,0,0]
	s_add_co_i32 s3, s3, -2
	s_cmp_lg_u32 s3, 0
	s_delay_alu instid0(VALU_DEP_1) | instskip(NEXT) | instid1(VALU_DEP_1)
	v_pk_mul_f32 v[2:3], v[2:3], v[2:3]
	v_add_f32_e32 v2, v2, v3
	s_delay_alu instid0(VALU_DEP_1) | instskip(NEXT) | instid1(VALU_DEP_1)
	v_dual_mul_f32 v4, 0x4f800000, v7 :: v_dual_mul_f32 v5, 0x4f800000, v2
	v_cndmask_b32_e32 v4, v7, v4, vcc_lo
	v_cmp_gt_f32_e64 s0, 0xf800000, v2
	s_delay_alu instid0(VALU_DEP_2) | instskip(SKIP_1) | instid1(TRANS32_DEP_1)
	v_sqrt_f32_e32 v3, v4
	v_nop
	v_dual_add_nc_u32 v7, -1, v3 :: v_dual_cndmask_b32 v2, v2, v5, s0
	s_delay_alu instid0(VALU_DEP_1) | instskip(NEXT) | instid1(VALU_DEP_2)
	v_dual_add_nc_u32 v5, 1, v3 :: v_dual_fma_f32 v39, -v7, v3, v4
	v_sqrt_f32_e32 v48, v2
	s_delay_alu instid0(VALU_DEP_1) | instskip(NEXT) | instid1(VALU_DEP_2)
	v_fma_f32 v49, -v5, v3, v4
	v_cmp_ge_f32_e64 s1, 0, v39
	s_delay_alu instid0(TRANS32_DEP_1) | instid1(VALU_DEP_1)
	v_dual_cndmask_b32 v3, v3, v7, s1 :: v_dual_add_nc_u32 v7, -1, v48
	s_delay_alu instid0(VALU_DEP_3) | instskip(NEXT) | instid1(VALU_DEP_2)
	v_cmp_lt_f32_e64 s1, 0, v49
	v_fma_f32 v39, -v7, v48, v2
	s_delay_alu instid0(VALU_DEP_2) | instskip(NEXT) | instid1(VALU_DEP_2)
	v_dual_cndmask_b32 v3, v3, v5, s1 :: v_dual_add_nc_u32 v5, 1, v48
	v_cmp_ge_f32_e64 s1, 0, v39
	s_delay_alu instid0(VALU_DEP_1) | instskip(NEXT) | instid1(VALU_DEP_1)
	v_dual_fma_f32 v52, -v5, v48, v2 :: v_dual_cndmask_b32 v7, v48, v7, s1
	v_cmp_lt_f32_e64 s1, 0, v52
	s_delay_alu instid0(VALU_DEP_1) | instskip(SKIP_1) | instid1(VALU_DEP_1)
	v_cndmask_b32_e64 v5, v7, v5, s1
	v_mul_f32_e32 v49, 0x37800000, v3
	v_cndmask_b32_e32 v3, v3, v49, vcc_lo
	v_cmp_class_f32_e64 vcc_lo, v4, 0x260
	s_delay_alu instid0(VALU_DEP_2) | instskip(NEXT) | instid1(VALU_DEP_1)
	v_cndmask_b32_e32 v3, v3, v4, vcc_lo
	v_cmp_nge_f32_e32 vcc_lo, 1.0, v3
	v_dual_cndmask_b32 v3, v6, v38 :: v_dual_mul_f32 v4, 0x37800000, v5
	v_cmp_class_f32_e64 vcc_lo, v2, 0x260
	s_delay_alu instid0(VALU_DEP_2) | instskip(NEXT) | instid1(VALU_DEP_1)
	v_dual_cndmask_b32 v4, v5, v4, s0 :: v_dual_add_f32 v5, 1.0, v3
	v_cndmask_b32_e32 v2, v4, v2, vcc_lo
	s_delay_alu instid0(VALU_DEP_1) | instskip(NEXT) | instid1(VALU_DEP_3)
	v_cmp_nge_f32_e32 vcc_lo, 1.0, v2
	v_cndmask_b32_e32 v38, v5, v3, vcc_lo
	s_cbranch_scc1 .LBB27_549
; %bb.550:
	v_dual_mov_b32 v1, 1 :: v_dual_add_nc_u32 v2, 0x20f5800, v0
	s_mov_b32 s1, 0
	s_mov_b32 s12, exec_lo
	s_delay_alu instid0(VALU_DEP_1)
	v_cmpx_ne_u32_e32 0, v2
	s_cbranch_execz .LBB27_556
; %bb.551:
	v_mov_b32_e32 v3, 0
	v_mov_b64_e32 v[6:7], 1
	s_mov_b64 s[8:9], 0xbc8f
	s_mov_b64 s[2:3], 0xfffffffd
	;; [unrolled: 1-line block ×3, first 2 shown]
	v_mov_b64_e32 v[4:5], v[2:3]
	s_mov_b64 s[6:7], 0x80000001
	s_mov_b32 s13, 0
	s_branch .LBB27_553
.LBB27_552:                             ;   in Loop: Header=BB27_553 Depth=1
	s_or_b32 exec_lo, exec_lo, s0
	s_mul_u64 s[8:9], s[8:9], s[8:9]
	s_mov_b32 s15, s1
	s_and_b64 s[16:17], s[8:9], s[2:3]
	s_mov_b32 s0, s9
	s_mul_u64 s[18:19], s[16:17], 3
	s_mul_u64 s[20:21], s[0:1], 3
	s_mov_b32 s14, s19
	s_mul_u64 s[16:17], s[16:17], s[6:7]
	s_add_nc_u64 s[14:15], s[20:21], s[14:15]
	v_lshrrev_b64 v[48:49], 1, v[4:5]
	s_and_b64 s[20:21], s[14:15], s[4:5]
	s_mov_b32 s19, s1
	s_add_nc_u64 s[16:17], s[16:17], s[20:21]
	s_mov_b32 s23, s1
	s_mov_b32 s18, s15
	;; [unrolled: 1-line block ×3, first 2 shown]
	s_mul_u64 s[16:17], s[0:1], s[6:7]
	s_add_nc_u64 s[14:15], s[18:19], s[22:23]
	v_cmp_gt_u64_e32 vcc_lo, 2, v[4:5]
	s_add_nc_u64 s[14:15], s[16:17], s[14:15]
	v_mov_b64_e32 v[4:5], v[48:49]
	s_lshr_b64 s[14:15], s[14:15], 30
	s_delay_alu instid0(SALU_CYCLE_1)
	s_mul_u64 s[14:15], s[14:15], 0x7fffffff
	s_or_b32 s13, vcc_lo, s13
	s_sub_nc_u64 s[8:9], s[8:9], s[14:15]
	s_and_not1_b32 exec_lo, exec_lo, s13
	s_cbranch_execz .LBB27_555
.LBB27_553:                             ; =>This Inner Loop Header: Depth=1
	s_delay_alu instid0(VALU_DEP_1) | instskip(SKIP_1) | instid1(VALU_DEP_1)
	v_and_b32_e32 v1, 1, v4
	s_mov_b32 s0, exec_lo
	v_cmpx_eq_u32_e32 1, v1
	s_cbranch_execz .LBB27_552
; %bb.554:                              ;   in Loop: Header=BB27_553 Depth=1
	v_mul_u64_e32 v[6:7], s[8:9], v[6:7]
	s_delay_alu instid0(VALU_DEP_1) | instskip(NEXT) | instid1(VALU_DEP_1)
	v_mov_b32_e32 v2, v6
	v_mul_u64_e32 v[48:49], 5, v[2:3]
	s_delay_alu instid0(VALU_DEP_1) | instskip(NEXT) | instid1(VALU_DEP_1)
	v_mov_b32_e32 v2, v49
	v_mad_nc_u64_u32 v[48:49], v7, 5, v[2:3]
	s_delay_alu instid0(VALU_DEP_1) | instskip(NEXT) | instid1(VALU_DEP_1)
	v_dual_mov_b32 v2, v49 :: v_dual_mov_b32 v49, v3
	v_mad_nc_u64_u32 v[48:49], v6, 2, v[48:49]
	s_delay_alu instid0(VALU_DEP_1) | instskip(NEXT) | instid1(VALU_DEP_1)
	v_dual_mov_b32 v48, v49 :: v_dual_mov_b32 v49, v3
	v_add_nc_u64_e32 v[48:49], v[2:3], v[48:49]
	s_delay_alu instid0(VALU_DEP_1) | instskip(NEXT) | instid1(VALU_DEP_1)
	v_mad_nc_u64_u32 v[48:49], v7, 2, v[48:49]
	v_sub_nc_u64_e32 v[52:53], v[6:7], v[48:49]
	s_delay_alu instid0(VALU_DEP_1) | instskip(NEXT) | instid1(VALU_DEP_1)
	v_lshrrev_b64 v[52:53], 1, v[52:53]
	v_add_nc_u64_e32 v[48:49], v[52:53], v[48:49]
	s_delay_alu instid0(VALU_DEP_1) | instskip(NEXT) | instid1(VALU_DEP_1)
	v_lshrrev_b64 v[48:49], 30, v[48:49]
	v_mul_u64_e32 v[48:49], 0x7fffffff, v[48:49]
	s_delay_alu instid0(VALU_DEP_1)
	v_sub_nc_u64_e32 v[6:7], v[6:7], v[48:49]
	s_branch .LBB27_552
.LBB27_555:
	s_or_b32 exec_lo, exec_lo, s13
	v_add_min_u32_e64 v1, 0x80000001, v6, v6
	s_delay_alu instid0(VALU_DEP_1)
	v_add_min_u32_e64 v1, 0x80000001, v1, v1
.LBB27_556:
	s_or_b32 exec_lo, exec_lo, s12
	v_mov_b32_e32 v39, 0
	s_movk_i32 s3, 0x1388
	s_brev_b32 s2, 12
.LBB27_557:                             ; =>This Inner Loop Header: Depth=1
	v_mul_hi_u32 v2, 0xbc8f1391, v1
	s_delay_alu instid0(VALU_DEP_1) | instskip(NEXT) | instid1(VALU_DEP_1)
	v_lshrrev_b32_e32 v2, 15, v2
	v_mul_u32_u24_e32 v3, 0xadc8, v2
	s_delay_alu instid0(VALU_DEP_1) | instskip(SKIP_1) | instid1(VALU_DEP_2)
	v_sub_nc_u32_e32 v1, v1, v3
	v_mul_u32_u24_e32 v2, 0xd47, v2
	v_mul_lo_u32 v1, 0xbc8f, v1
	s_delay_alu instid0(VALU_DEP_2) | instskip(SKIP_1) | instid1(VALU_DEP_3)
	v_xor_b32_e32 v3, 0x7fffffff, v2
	v_sub_nc_u32_e32 v4, 0, v2
	v_cmp_lt_u32_e32 vcc_lo, v1, v2
	s_delay_alu instid0(VALU_DEP_2) | instskip(NEXT) | instid1(VALU_DEP_1)
	v_cndmask_b32_e32 v2, v4, v3, vcc_lo
	v_add_nc_u32_e32 v1, v2, v1
	s_delay_alu instid0(VALU_DEP_1) | instskip(NEXT) | instid1(VALU_DEP_1)
	v_mul_hi_u32 v2, 0xbc8f1391, v1
	v_lshrrev_b32_e32 v2, 15, v2
	s_delay_alu instid0(VALU_DEP_1) | instskip(SKIP_1) | instid1(VALU_DEP_2)
	v_mul_u32_u24_e32 v3, 0xadc8, v2
	v_mul_u32_u24_e32 v2, 0xd47, v2
	v_sub_nc_u32_e32 v3, v1, v3
	s_delay_alu instid0(VALU_DEP_2) | instskip(SKIP_1) | instid1(VALU_DEP_3)
	v_xor_b32_e32 v4, 0x7fffffff, v2
	v_add_nc_u32_e32 v1, -1, v1
	v_mul_lo_u32 v3, 0xbc8f, v3
	v_sub_nc_u32_e32 v5, 0, v2
	s_delay_alu instid0(VALU_DEP_2) | instskip(NEXT) | instid1(VALU_DEP_2)
	v_cmp_lt_u32_e32 vcc_lo, v3, v2
	v_cndmask_b32_e32 v2, v5, v4, vcc_lo
	s_delay_alu instid0(VALU_DEP_1) | instskip(NEXT) | instid1(VALU_DEP_1)
	v_add_nc_u32_e32 v3, v2, v3
	v_mul_hi_u32 v2, 0xbc8f1391, v3
	s_delay_alu instid0(VALU_DEP_1) | instskip(NEXT) | instid1(VALU_DEP_1)
	v_lshrrev_b32_e32 v2, 15, v2
	v_mul_u32_u24_e32 v4, 0xadc8, v2
	v_mul_u32_u24_e32 v2, 0xd47, v2
	s_delay_alu instid0(VALU_DEP_2) | instskip(NEXT) | instid1(VALU_DEP_2)
	v_sub_nc_u32_e32 v4, v3, v4
	v_xor_b32_e32 v5, 0x7fffffff, v2
	s_delay_alu instid0(VALU_DEP_2) | instskip(SKIP_1) | instid1(VALU_DEP_2)
	v_mul_lo_u32 v4, 0xbc8f, v4
	v_sub_nc_u32_e32 v6, 0, v2
	v_cmp_lt_u32_e32 vcc_lo, v4, v2
	s_delay_alu instid0(VALU_DEP_2) | instskip(NEXT) | instid1(VALU_DEP_1)
	v_dual_cndmask_b32 v2, v6, v5, vcc_lo :: v_dual_add_f32 v6, 1.0, v39
	v_add_nc_u32_e32 v4, v2, v4
	s_delay_alu instid0(VALU_DEP_1) | instskip(NEXT) | instid1(VALU_DEP_1)
	v_mul_hi_u32 v2, 0xbc8f1391, v4
	v_lshrrev_b32_e32 v2, 15, v2
	s_delay_alu instid0(VALU_DEP_1) | instskip(SKIP_2) | instid1(VALU_DEP_3)
	v_mul_u32_u24_e32 v5, 0xadc8, v2
	v_mul_u32_u24_e32 v7, 0xd47, v2
	v_cvt_f32_u32_e32 v2, v1
	v_sub_nc_u32_e32 v5, v4, v5
	s_delay_alu instid0(VALU_DEP_3) | instskip(SKIP_1) | instid1(VALU_DEP_3)
	v_xor_b32_e32 v1, 0x7fffffff, v7
	v_dual_sub_nc_u32 v48, 0, v7 :: v_dual_add_nc_u32 v4, -1, v4
	v_mul_lo_u32 v5, 0xbc8f, v5
	s_delay_alu instid0(VALU_DEP_2) | instskip(NEXT) | instid1(VALU_DEP_2)
	v_cvt_f32_u32_e32 v4, v4
	v_cmp_lt_u32_e32 vcc_lo, v5, v7
	s_delay_alu instid0(VALU_DEP_4) | instskip(NEXT) | instid1(VALU_DEP_1)
	v_dual_add_nc_u32 v3, -1, v3 :: v_dual_cndmask_b32 v1, v48, v1, vcc_lo
	v_cvt_f32_u32_e32 v3, v3
	s_delay_alu instid0(VALU_DEP_2) | instskip(NEXT) | instid1(VALU_DEP_2)
	v_add_nc_u32_e32 v1, v1, v5
	v_pk_fma_f32 v[2:3], v[2:3], s[2:3], 0 op_sel_hi:[1,0,0]
	s_delay_alu instid0(VALU_DEP_1) | instskip(NEXT) | instid1(VALU_DEP_1)
	v_pk_mul_f32 v[2:3], v[2:3], v[2:3]
	v_dual_add_nc_u32 v5, -1, v1 :: v_dual_add_f32 v7, v2, v3
	s_delay_alu instid0(VALU_DEP_1) | instskip(NEXT) | instid1(VALU_DEP_2)
	v_cvt_f32_u32_e32 v5, v5
	v_cmp_gt_f32_e32 vcc_lo, 0xf800000, v7
	s_delay_alu instid0(VALU_DEP_2) | instskip(SKIP_1) | instid1(SALU_CYCLE_1)
	v_pk_fma_f32 v[2:3], v[4:5], s[2:3], 0 op_sel_hi:[1,0,0]
	s_add_co_i32 s3, s3, -2
	s_cmp_lg_u32 s3, 0
	s_delay_alu instid0(VALU_DEP_1) | instskip(NEXT) | instid1(VALU_DEP_1)
	v_pk_mul_f32 v[2:3], v[2:3], v[2:3]
	v_add_f32_e32 v2, v2, v3
	s_delay_alu instid0(VALU_DEP_1) | instskip(NEXT) | instid1(VALU_DEP_1)
	v_dual_mul_f32 v4, 0x4f800000, v7 :: v_dual_mul_f32 v5, 0x4f800000, v2
	v_cndmask_b32_e32 v4, v7, v4, vcc_lo
	v_cmp_gt_f32_e64 s0, 0xf800000, v2
	s_delay_alu instid0(VALU_DEP_2) | instskip(SKIP_1) | instid1(TRANS32_DEP_1)
	v_sqrt_f32_e32 v3, v4
	v_nop
	v_dual_add_nc_u32 v7, -1, v3 :: v_dual_cndmask_b32 v2, v2, v5, s0
	s_delay_alu instid0(VALU_DEP_1) | instskip(NEXT) | instid1(VALU_DEP_2)
	v_dual_add_nc_u32 v5, 1, v3 :: v_dual_fma_f32 v48, -v7, v3, v4
	v_sqrt_f32_e32 v49, v2
	s_delay_alu instid0(VALU_DEP_1) | instskip(NEXT) | instid1(VALU_DEP_2)
	v_fma_f32 v52, -v5, v3, v4
	v_cmp_ge_f32_e64 s1, 0, v48
	s_delay_alu instid0(TRANS32_DEP_1) | instid1(VALU_DEP_1)
	v_dual_cndmask_b32 v3, v3, v7, s1 :: v_dual_add_nc_u32 v7, -1, v49
	s_delay_alu instid0(VALU_DEP_3) | instskip(NEXT) | instid1(VALU_DEP_1)
	v_cmp_lt_f32_e64 s1, 0, v52
	v_cndmask_b32_e64 v3, v3, v5, s1
	s_delay_alu instid0(VALU_DEP_3) | instskip(NEXT) | instid1(VALU_DEP_1)
	v_dual_add_nc_u32 v5, 1, v49 :: v_dual_fma_f32 v48, -v7, v49, v2
	v_fma_f32 v53, -v5, v49, v2
	s_delay_alu instid0(VALU_DEP_2) | instskip(NEXT) | instid1(VALU_DEP_1)
	v_cmp_ge_f32_e64 s1, 0, v48
	v_cndmask_b32_e64 v7, v49, v7, s1
	v_mul_f32_e32 v52, 0x37800000, v3
	s_delay_alu instid0(VALU_DEP_4) | instskip(NEXT) | instid1(VALU_DEP_1)
	v_cmp_lt_f32_e64 s1, 0, v53
	v_cndmask_b32_e64 v5, v7, v5, s1
	s_delay_alu instid0(VALU_DEP_3) | instskip(SKIP_1) | instid1(VALU_DEP_2)
	v_cndmask_b32_e32 v3, v3, v52, vcc_lo
	v_cmp_class_f32_e64 vcc_lo, v4, 0x260
	v_cndmask_b32_e32 v3, v3, v4, vcc_lo
	s_delay_alu instid0(VALU_DEP_1) | instskip(SKIP_2) | instid1(VALU_DEP_2)
	v_cmp_nge_f32_e32 vcc_lo, 1.0, v3
	v_dual_cndmask_b32 v3, v6, v39 :: v_dual_mul_f32 v4, 0x37800000, v5
	v_cmp_class_f32_e64 vcc_lo, v2, 0x260
	v_dual_cndmask_b32 v4, v5, v4, s0 :: v_dual_add_f32 v5, 1.0, v3
	s_delay_alu instid0(VALU_DEP_1) | instskip(NEXT) | instid1(VALU_DEP_1)
	v_cndmask_b32_e32 v2, v4, v2, vcc_lo
	v_cmp_nge_f32_e32 vcc_lo, 1.0, v2
	s_delay_alu instid0(VALU_DEP_3)
	v_cndmask_b32_e32 v39, v5, v3, vcc_lo
	s_cbranch_scc1 .LBB27_557
; %bb.558:
	v_dual_mov_b32 v1, 1 :: v_dual_add_nc_u32 v2, 0x222e000, v0
	s_mov_b32 s1, 0
	s_mov_b32 s12, exec_lo
	s_delay_alu instid0(VALU_DEP_1)
	v_cmpx_ne_u32_e32 0, v2
	s_cbranch_execz .LBB27_564
; %bb.559:
	v_mov_b32_e32 v3, 0
	v_mov_b64_e32 v[6:7], 1
	s_mov_b64 s[8:9], 0xbc8f
	s_mov_b64 s[2:3], 0xfffffffd
	;; [unrolled: 1-line block ×3, first 2 shown]
	v_mov_b64_e32 v[4:5], v[2:3]
	s_mov_b64 s[6:7], 0x80000001
	s_mov_b32 s13, 0
	s_branch .LBB27_561
.LBB27_560:                             ;   in Loop: Header=BB27_561 Depth=1
	s_or_b32 exec_lo, exec_lo, s0
	s_mul_u64 s[8:9], s[8:9], s[8:9]
	s_mov_b32 s15, s1
	s_and_b64 s[16:17], s[8:9], s[2:3]
	s_mov_b32 s0, s9
	s_mul_u64 s[18:19], s[16:17], 3
	s_mul_u64 s[20:21], s[0:1], 3
	s_mov_b32 s14, s19
	s_mul_u64 s[16:17], s[16:17], s[6:7]
	s_add_nc_u64 s[14:15], s[20:21], s[14:15]
	v_lshrrev_b64 v[48:49], 1, v[4:5]
	s_and_b64 s[20:21], s[14:15], s[4:5]
	s_mov_b32 s19, s1
	s_add_nc_u64 s[16:17], s[16:17], s[20:21]
	s_mov_b32 s23, s1
	s_mov_b32 s18, s15
	;; [unrolled: 1-line block ×3, first 2 shown]
	s_mul_u64 s[16:17], s[0:1], s[6:7]
	s_add_nc_u64 s[14:15], s[18:19], s[22:23]
	v_cmp_gt_u64_e32 vcc_lo, 2, v[4:5]
	s_add_nc_u64 s[14:15], s[16:17], s[14:15]
	v_mov_b64_e32 v[4:5], v[48:49]
	s_lshr_b64 s[14:15], s[14:15], 30
	s_delay_alu instid0(SALU_CYCLE_1)
	s_mul_u64 s[14:15], s[14:15], 0x7fffffff
	s_or_b32 s13, vcc_lo, s13
	s_sub_nc_u64 s[8:9], s[8:9], s[14:15]
	s_and_not1_b32 exec_lo, exec_lo, s13
	s_cbranch_execz .LBB27_563
.LBB27_561:                             ; =>This Inner Loop Header: Depth=1
	s_delay_alu instid0(VALU_DEP_1) | instskip(SKIP_1) | instid1(VALU_DEP_1)
	v_and_b32_e32 v1, 1, v4
	s_mov_b32 s0, exec_lo
	v_cmpx_eq_u32_e32 1, v1
	s_cbranch_execz .LBB27_560
; %bb.562:                              ;   in Loop: Header=BB27_561 Depth=1
	v_mul_u64_e32 v[6:7], s[8:9], v[6:7]
	s_delay_alu instid0(VALU_DEP_1) | instskip(NEXT) | instid1(VALU_DEP_1)
	v_mov_b32_e32 v2, v6
	v_mul_u64_e32 v[48:49], 5, v[2:3]
	s_delay_alu instid0(VALU_DEP_1) | instskip(NEXT) | instid1(VALU_DEP_1)
	v_mov_b32_e32 v2, v49
	v_mad_nc_u64_u32 v[48:49], v7, 5, v[2:3]
	s_delay_alu instid0(VALU_DEP_1) | instskip(NEXT) | instid1(VALU_DEP_1)
	v_dual_mov_b32 v2, v49 :: v_dual_mov_b32 v49, v3
	v_mad_nc_u64_u32 v[48:49], v6, 2, v[48:49]
	s_delay_alu instid0(VALU_DEP_1) | instskip(NEXT) | instid1(VALU_DEP_1)
	v_dual_mov_b32 v48, v49 :: v_dual_mov_b32 v49, v3
	v_add_nc_u64_e32 v[48:49], v[2:3], v[48:49]
	s_delay_alu instid0(VALU_DEP_1) | instskip(NEXT) | instid1(VALU_DEP_1)
	v_mad_nc_u64_u32 v[48:49], v7, 2, v[48:49]
	v_sub_nc_u64_e32 v[52:53], v[6:7], v[48:49]
	s_delay_alu instid0(VALU_DEP_1) | instskip(NEXT) | instid1(VALU_DEP_1)
	v_lshrrev_b64 v[52:53], 1, v[52:53]
	v_add_nc_u64_e32 v[48:49], v[52:53], v[48:49]
	s_delay_alu instid0(VALU_DEP_1) | instskip(NEXT) | instid1(VALU_DEP_1)
	v_lshrrev_b64 v[48:49], 30, v[48:49]
	v_mul_u64_e32 v[48:49], 0x7fffffff, v[48:49]
	s_delay_alu instid0(VALU_DEP_1)
	v_sub_nc_u64_e32 v[6:7], v[6:7], v[48:49]
	s_branch .LBB27_560
.LBB27_563:
	s_or_b32 exec_lo, exec_lo, s13
	v_add_min_u32_e64 v1, 0x80000001, v6, v6
	s_delay_alu instid0(VALU_DEP_1)
	v_add_min_u32_e64 v1, 0x80000001, v1, v1
.LBB27_564:
	s_or_b32 exec_lo, exec_lo, s12
	v_mov_b32_e32 v48, 0
	s_movk_i32 s3, 0x1388
	s_brev_b32 s2, 12
.LBB27_565:                             ; =>This Inner Loop Header: Depth=1
	v_mul_hi_u32 v2, 0xbc8f1391, v1
	s_delay_alu instid0(VALU_DEP_1) | instskip(NEXT) | instid1(VALU_DEP_1)
	v_lshrrev_b32_e32 v2, 15, v2
	v_mul_u32_u24_e32 v3, 0xadc8, v2
	s_delay_alu instid0(VALU_DEP_1) | instskip(SKIP_1) | instid1(VALU_DEP_2)
	v_sub_nc_u32_e32 v1, v1, v3
	v_mul_u32_u24_e32 v2, 0xd47, v2
	v_mul_lo_u32 v1, 0xbc8f, v1
	s_delay_alu instid0(VALU_DEP_2) | instskip(SKIP_1) | instid1(VALU_DEP_3)
	v_xor_b32_e32 v3, 0x7fffffff, v2
	v_sub_nc_u32_e32 v4, 0, v2
	v_cmp_lt_u32_e32 vcc_lo, v1, v2
	s_delay_alu instid0(VALU_DEP_2) | instskip(NEXT) | instid1(VALU_DEP_1)
	v_cndmask_b32_e32 v2, v4, v3, vcc_lo
	v_add_nc_u32_e32 v1, v2, v1
	s_delay_alu instid0(VALU_DEP_1) | instskip(NEXT) | instid1(VALU_DEP_1)
	v_mul_hi_u32 v2, 0xbc8f1391, v1
	v_lshrrev_b32_e32 v2, 15, v2
	s_delay_alu instid0(VALU_DEP_1) | instskip(SKIP_1) | instid1(VALU_DEP_2)
	v_mul_u32_u24_e32 v3, 0xadc8, v2
	v_mul_u32_u24_e32 v2, 0xd47, v2
	v_sub_nc_u32_e32 v3, v1, v3
	s_delay_alu instid0(VALU_DEP_2) | instskip(SKIP_1) | instid1(VALU_DEP_3)
	v_xor_b32_e32 v4, 0x7fffffff, v2
	v_add_nc_u32_e32 v1, -1, v1
	v_mul_lo_u32 v3, 0xbc8f, v3
	v_sub_nc_u32_e32 v5, 0, v2
	s_delay_alu instid0(VALU_DEP_2) | instskip(NEXT) | instid1(VALU_DEP_2)
	v_cmp_lt_u32_e32 vcc_lo, v3, v2
	v_cndmask_b32_e32 v2, v5, v4, vcc_lo
	s_delay_alu instid0(VALU_DEP_1) | instskip(NEXT) | instid1(VALU_DEP_1)
	v_add_nc_u32_e32 v3, v2, v3
	v_mul_hi_u32 v2, 0xbc8f1391, v3
	s_delay_alu instid0(VALU_DEP_1) | instskip(NEXT) | instid1(VALU_DEP_1)
	v_lshrrev_b32_e32 v2, 15, v2
	v_mul_u32_u24_e32 v4, 0xadc8, v2
	v_mul_u32_u24_e32 v2, 0xd47, v2
	s_delay_alu instid0(VALU_DEP_2) | instskip(NEXT) | instid1(VALU_DEP_2)
	v_sub_nc_u32_e32 v4, v3, v4
	v_xor_b32_e32 v5, 0x7fffffff, v2
	s_delay_alu instid0(VALU_DEP_2) | instskip(SKIP_1) | instid1(VALU_DEP_2)
	v_mul_lo_u32 v4, 0xbc8f, v4
	v_sub_nc_u32_e32 v6, 0, v2
	v_cmp_lt_u32_e32 vcc_lo, v4, v2
	s_delay_alu instid0(VALU_DEP_2) | instskip(NEXT) | instid1(VALU_DEP_1)
	v_dual_cndmask_b32 v2, v6, v5, vcc_lo :: v_dual_add_f32 v6, 1.0, v48
	v_add_nc_u32_e32 v4, v2, v4
	s_delay_alu instid0(VALU_DEP_1) | instskip(NEXT) | instid1(VALU_DEP_1)
	v_mul_hi_u32 v2, 0xbc8f1391, v4
	v_lshrrev_b32_e32 v2, 15, v2
	s_delay_alu instid0(VALU_DEP_1) | instskip(SKIP_2) | instid1(VALU_DEP_3)
	v_mul_u32_u24_e32 v5, 0xadc8, v2
	v_mul_u32_u24_e32 v7, 0xd47, v2
	v_cvt_f32_u32_e32 v2, v1
	v_sub_nc_u32_e32 v5, v4, v5
	s_delay_alu instid0(VALU_DEP_3) | instskip(SKIP_1) | instid1(VALU_DEP_3)
	v_xor_b32_e32 v1, 0x7fffffff, v7
	v_dual_sub_nc_u32 v49, 0, v7 :: v_dual_add_nc_u32 v4, -1, v4
	v_mul_lo_u32 v5, 0xbc8f, v5
	s_delay_alu instid0(VALU_DEP_2) | instskip(NEXT) | instid1(VALU_DEP_2)
	v_cvt_f32_u32_e32 v4, v4
	v_cmp_lt_u32_e32 vcc_lo, v5, v7
	s_delay_alu instid0(VALU_DEP_4) | instskip(NEXT) | instid1(VALU_DEP_1)
	v_dual_add_nc_u32 v3, -1, v3 :: v_dual_cndmask_b32 v1, v49, v1, vcc_lo
	v_cvt_f32_u32_e32 v3, v3
	s_delay_alu instid0(VALU_DEP_2) | instskip(NEXT) | instid1(VALU_DEP_2)
	v_add_nc_u32_e32 v1, v1, v5
	v_pk_fma_f32 v[2:3], v[2:3], s[2:3], 0 op_sel_hi:[1,0,0]
	s_delay_alu instid0(VALU_DEP_1) | instskip(NEXT) | instid1(VALU_DEP_1)
	v_pk_mul_f32 v[2:3], v[2:3], v[2:3]
	v_dual_add_nc_u32 v5, -1, v1 :: v_dual_add_f32 v7, v2, v3
	s_delay_alu instid0(VALU_DEP_1) | instskip(NEXT) | instid1(VALU_DEP_2)
	v_cvt_f32_u32_e32 v5, v5
	v_cmp_gt_f32_e32 vcc_lo, 0xf800000, v7
	s_delay_alu instid0(VALU_DEP_2) | instskip(SKIP_1) | instid1(SALU_CYCLE_1)
	v_pk_fma_f32 v[2:3], v[4:5], s[2:3], 0 op_sel_hi:[1,0,0]
	s_add_co_i32 s3, s3, -2
	s_cmp_lg_u32 s3, 0
	s_delay_alu instid0(VALU_DEP_1) | instskip(NEXT) | instid1(VALU_DEP_1)
	v_pk_mul_f32 v[2:3], v[2:3], v[2:3]
	v_add_f32_e32 v2, v2, v3
	s_delay_alu instid0(VALU_DEP_1) | instskip(NEXT) | instid1(VALU_DEP_1)
	v_dual_mul_f32 v4, 0x4f800000, v7 :: v_dual_mul_f32 v5, 0x4f800000, v2
	v_cndmask_b32_e32 v4, v7, v4, vcc_lo
	v_cmp_gt_f32_e64 s0, 0xf800000, v2
	s_delay_alu instid0(VALU_DEP_2) | instskip(SKIP_1) | instid1(TRANS32_DEP_1)
	v_sqrt_f32_e32 v3, v4
	v_nop
	v_dual_add_nc_u32 v7, -1, v3 :: v_dual_cndmask_b32 v2, v2, v5, s0
	s_delay_alu instid0(VALU_DEP_1) | instskip(NEXT) | instid1(VALU_DEP_2)
	v_dual_add_nc_u32 v5, 1, v3 :: v_dual_fma_f32 v49, -v7, v3, v4
	v_sqrt_f32_e32 v52, v2
	s_delay_alu instid0(VALU_DEP_1) | instskip(NEXT) | instid1(VALU_DEP_2)
	v_fma_f32 v53, -v5, v3, v4
	v_cmp_ge_f32_e64 s1, 0, v49
	s_delay_alu instid0(TRANS32_DEP_1) | instid1(VALU_DEP_1)
	v_dual_cndmask_b32 v3, v3, v7, s1 :: v_dual_add_nc_u32 v7, -1, v52
	s_delay_alu instid0(VALU_DEP_3) | instskip(NEXT) | instid1(VALU_DEP_2)
	v_cmp_lt_f32_e64 s1, 0, v53
	v_fma_f32 v49, -v7, v52, v2
	s_delay_alu instid0(VALU_DEP_2) | instskip(NEXT) | instid1(VALU_DEP_2)
	v_dual_cndmask_b32 v3, v3, v5, s1 :: v_dual_add_nc_u32 v5, 1, v52
	v_cmp_ge_f32_e64 s1, 0, v49
	s_delay_alu instid0(VALU_DEP_1) | instskip(NEXT) | instid1(VALU_DEP_1)
	v_dual_fma_f32 v54, -v5, v52, v2 :: v_dual_cndmask_b32 v7, v52, v7, s1
	v_cmp_lt_f32_e64 s1, 0, v54
	s_delay_alu instid0(VALU_DEP_1) | instskip(SKIP_1) | instid1(VALU_DEP_1)
	v_cndmask_b32_e64 v5, v7, v5, s1
	v_mul_f32_e32 v53, 0x37800000, v3
	v_cndmask_b32_e32 v3, v3, v53, vcc_lo
	v_cmp_class_f32_e64 vcc_lo, v4, 0x260
	s_delay_alu instid0(VALU_DEP_2) | instskip(NEXT) | instid1(VALU_DEP_1)
	v_cndmask_b32_e32 v3, v3, v4, vcc_lo
	v_cmp_nge_f32_e32 vcc_lo, 1.0, v3
	v_dual_cndmask_b32 v3, v6, v48 :: v_dual_mul_f32 v4, 0x37800000, v5
	v_cmp_class_f32_e64 vcc_lo, v2, 0x260
	s_delay_alu instid0(VALU_DEP_2) | instskip(NEXT) | instid1(VALU_DEP_1)
	v_dual_cndmask_b32 v4, v5, v4, s0 :: v_dual_add_f32 v5, 1.0, v3
	v_cndmask_b32_e32 v2, v4, v2, vcc_lo
	s_delay_alu instid0(VALU_DEP_1) | instskip(NEXT) | instid1(VALU_DEP_3)
	v_cmp_nge_f32_e32 vcc_lo, 1.0, v2
	v_cndmask_b32_e32 v48, v5, v3, vcc_lo
	s_cbranch_scc1 .LBB27_565
; %bb.566:
	v_dual_mov_b32 v1, 1 :: v_dual_add_nc_u32 v2, 0x2366800, v0
	s_mov_b32 s1, 0
	s_mov_b32 s12, exec_lo
	s_delay_alu instid0(VALU_DEP_1)
	v_cmpx_ne_u32_e32 0, v2
	s_cbranch_execz .LBB27_572
; %bb.567:
	v_mov_b32_e32 v3, 0
	v_mov_b64_e32 v[6:7], 1
	s_mov_b64 s[8:9], 0xbc8f
	s_mov_b64 s[2:3], 0xfffffffd
	s_mov_b64 s[4:5], 0xffffffff
	v_mov_b64_e32 v[4:5], v[2:3]
	s_mov_b64 s[6:7], 0x80000001
	s_mov_b32 s13, 0
	s_branch .LBB27_569
.LBB27_568:                             ;   in Loop: Header=BB27_569 Depth=1
	s_or_b32 exec_lo, exec_lo, s0
	s_mul_u64 s[8:9], s[8:9], s[8:9]
	s_mov_b32 s15, s1
	s_and_b64 s[16:17], s[8:9], s[2:3]
	s_mov_b32 s0, s9
	s_mul_u64 s[18:19], s[16:17], 3
	s_mul_u64 s[20:21], s[0:1], 3
	s_mov_b32 s14, s19
	s_mul_u64 s[16:17], s[16:17], s[6:7]
	s_add_nc_u64 s[14:15], s[20:21], s[14:15]
	v_lshrrev_b64 v[52:53], 1, v[4:5]
	s_and_b64 s[20:21], s[14:15], s[4:5]
	s_mov_b32 s19, s1
	s_add_nc_u64 s[16:17], s[16:17], s[20:21]
	s_mov_b32 s23, s1
	s_mov_b32 s18, s15
	;; [unrolled: 1-line block ×3, first 2 shown]
	s_mul_u64 s[16:17], s[0:1], s[6:7]
	s_add_nc_u64 s[14:15], s[18:19], s[22:23]
	v_cmp_gt_u64_e32 vcc_lo, 2, v[4:5]
	s_add_nc_u64 s[14:15], s[16:17], s[14:15]
	v_mov_b64_e32 v[4:5], v[52:53]
	s_lshr_b64 s[14:15], s[14:15], 30
	s_delay_alu instid0(SALU_CYCLE_1)
	s_mul_u64 s[14:15], s[14:15], 0x7fffffff
	s_or_b32 s13, vcc_lo, s13
	s_sub_nc_u64 s[8:9], s[8:9], s[14:15]
	s_and_not1_b32 exec_lo, exec_lo, s13
	s_cbranch_execz .LBB27_571
.LBB27_569:                             ; =>This Inner Loop Header: Depth=1
	s_delay_alu instid0(VALU_DEP_1) | instskip(SKIP_1) | instid1(VALU_DEP_1)
	v_and_b32_e32 v1, 1, v4
	s_mov_b32 s0, exec_lo
	v_cmpx_eq_u32_e32 1, v1
	s_cbranch_execz .LBB27_568
; %bb.570:                              ;   in Loop: Header=BB27_569 Depth=1
	v_mul_u64_e32 v[6:7], s[8:9], v[6:7]
	s_delay_alu instid0(VALU_DEP_1) | instskip(NEXT) | instid1(VALU_DEP_1)
	v_mov_b32_e32 v2, v6
	v_mul_u64_e32 v[52:53], 5, v[2:3]
	s_delay_alu instid0(VALU_DEP_1) | instskip(NEXT) | instid1(VALU_DEP_1)
	v_mov_b32_e32 v2, v53
	v_mad_nc_u64_u32 v[52:53], v7, 5, v[2:3]
	s_delay_alu instid0(VALU_DEP_1) | instskip(NEXT) | instid1(VALU_DEP_1)
	v_dual_mov_b32 v2, v53 :: v_dual_mov_b32 v53, v3
	v_mad_nc_u64_u32 v[52:53], v6, 2, v[52:53]
	s_delay_alu instid0(VALU_DEP_1) | instskip(NEXT) | instid1(VALU_DEP_1)
	v_dual_mov_b32 v52, v53 :: v_dual_mov_b32 v53, v3
	v_add_nc_u64_e32 v[52:53], v[2:3], v[52:53]
	s_delay_alu instid0(VALU_DEP_1) | instskip(NEXT) | instid1(VALU_DEP_1)
	v_mad_nc_u64_u32 v[52:53], v7, 2, v[52:53]
	v_sub_nc_u64_e32 v[54:55], v[6:7], v[52:53]
	s_delay_alu instid0(VALU_DEP_1) | instskip(NEXT) | instid1(VALU_DEP_1)
	v_lshrrev_b64 v[54:55], 1, v[54:55]
	v_add_nc_u64_e32 v[52:53], v[54:55], v[52:53]
	s_delay_alu instid0(VALU_DEP_1) | instskip(NEXT) | instid1(VALU_DEP_1)
	v_lshrrev_b64 v[52:53], 30, v[52:53]
	v_mul_u64_e32 v[52:53], 0x7fffffff, v[52:53]
	s_delay_alu instid0(VALU_DEP_1)
	v_sub_nc_u64_e32 v[6:7], v[6:7], v[52:53]
	s_branch .LBB27_568
.LBB27_571:
	s_or_b32 exec_lo, exec_lo, s13
	v_add_min_u32_e64 v1, 0x80000001, v6, v6
	s_delay_alu instid0(VALU_DEP_1)
	v_add_min_u32_e64 v1, 0x80000001, v1, v1
.LBB27_572:
	s_or_b32 exec_lo, exec_lo, s12
	v_mov_b32_e32 v49, 0
	s_movk_i32 s3, 0x1388
	s_brev_b32 s2, 12
.LBB27_573:                             ; =>This Inner Loop Header: Depth=1
	v_mul_hi_u32 v2, 0xbc8f1391, v1
	s_delay_alu instid0(VALU_DEP_1) | instskip(NEXT) | instid1(VALU_DEP_1)
	v_lshrrev_b32_e32 v2, 15, v2
	v_mul_u32_u24_e32 v3, 0xadc8, v2
	s_delay_alu instid0(VALU_DEP_1) | instskip(SKIP_1) | instid1(VALU_DEP_2)
	v_sub_nc_u32_e32 v1, v1, v3
	v_mul_u32_u24_e32 v2, 0xd47, v2
	v_mul_lo_u32 v1, 0xbc8f, v1
	s_delay_alu instid0(VALU_DEP_2) | instskip(SKIP_1) | instid1(VALU_DEP_3)
	v_xor_b32_e32 v3, 0x7fffffff, v2
	v_sub_nc_u32_e32 v4, 0, v2
	v_cmp_lt_u32_e32 vcc_lo, v1, v2
	s_delay_alu instid0(VALU_DEP_2) | instskip(NEXT) | instid1(VALU_DEP_1)
	v_cndmask_b32_e32 v2, v4, v3, vcc_lo
	v_add_nc_u32_e32 v1, v2, v1
	s_delay_alu instid0(VALU_DEP_1) | instskip(NEXT) | instid1(VALU_DEP_1)
	v_mul_hi_u32 v2, 0xbc8f1391, v1
	v_lshrrev_b32_e32 v2, 15, v2
	s_delay_alu instid0(VALU_DEP_1) | instskip(SKIP_1) | instid1(VALU_DEP_2)
	v_mul_u32_u24_e32 v3, 0xadc8, v2
	v_mul_u32_u24_e32 v2, 0xd47, v2
	v_sub_nc_u32_e32 v3, v1, v3
	s_delay_alu instid0(VALU_DEP_2) | instskip(SKIP_1) | instid1(VALU_DEP_3)
	v_xor_b32_e32 v4, 0x7fffffff, v2
	v_add_nc_u32_e32 v1, -1, v1
	v_mul_lo_u32 v3, 0xbc8f, v3
	v_sub_nc_u32_e32 v5, 0, v2
	s_delay_alu instid0(VALU_DEP_2) | instskip(NEXT) | instid1(VALU_DEP_2)
	v_cmp_lt_u32_e32 vcc_lo, v3, v2
	v_cndmask_b32_e32 v2, v5, v4, vcc_lo
	s_delay_alu instid0(VALU_DEP_1) | instskip(NEXT) | instid1(VALU_DEP_1)
	v_add_nc_u32_e32 v3, v2, v3
	v_mul_hi_u32 v2, 0xbc8f1391, v3
	s_delay_alu instid0(VALU_DEP_1) | instskip(NEXT) | instid1(VALU_DEP_1)
	v_lshrrev_b32_e32 v2, 15, v2
	v_mul_u32_u24_e32 v4, 0xadc8, v2
	v_mul_u32_u24_e32 v2, 0xd47, v2
	s_delay_alu instid0(VALU_DEP_2) | instskip(NEXT) | instid1(VALU_DEP_2)
	v_sub_nc_u32_e32 v4, v3, v4
	v_xor_b32_e32 v5, 0x7fffffff, v2
	s_delay_alu instid0(VALU_DEP_2) | instskip(SKIP_1) | instid1(VALU_DEP_2)
	v_mul_lo_u32 v4, 0xbc8f, v4
	v_sub_nc_u32_e32 v6, 0, v2
	v_cmp_lt_u32_e32 vcc_lo, v4, v2
	s_delay_alu instid0(VALU_DEP_2) | instskip(NEXT) | instid1(VALU_DEP_1)
	v_cndmask_b32_e32 v2, v6, v5, vcc_lo
	v_dual_add_f32 v6, 1.0, v49 :: v_dual_add_nc_u32 v4, v2, v4
	s_delay_alu instid0(VALU_DEP_1) | instskip(NEXT) | instid1(VALU_DEP_1)
	v_mul_hi_u32 v2, 0xbc8f1391, v4
	v_lshrrev_b32_e32 v2, 15, v2
	s_delay_alu instid0(VALU_DEP_1) | instskip(SKIP_2) | instid1(VALU_DEP_3)
	v_mul_u32_u24_e32 v5, 0xadc8, v2
	v_mul_u32_u24_e32 v7, 0xd47, v2
	v_cvt_f32_u32_e32 v2, v1
	v_sub_nc_u32_e32 v5, v4, v5
	s_delay_alu instid0(VALU_DEP_3) | instskip(SKIP_1) | instid1(VALU_DEP_3)
	v_xor_b32_e32 v1, 0x7fffffff, v7
	v_dual_sub_nc_u32 v52, 0, v7 :: v_dual_add_nc_u32 v4, -1, v4
	v_mul_lo_u32 v5, 0xbc8f, v5
	s_delay_alu instid0(VALU_DEP_2) | instskip(NEXT) | instid1(VALU_DEP_2)
	v_cvt_f32_u32_e32 v4, v4
	v_cmp_lt_u32_e32 vcc_lo, v5, v7
	s_delay_alu instid0(VALU_DEP_4) | instskip(NEXT) | instid1(VALU_DEP_1)
	v_dual_add_nc_u32 v3, -1, v3 :: v_dual_cndmask_b32 v1, v52, v1, vcc_lo
	v_cvt_f32_u32_e32 v3, v3
	s_delay_alu instid0(VALU_DEP_2) | instskip(NEXT) | instid1(VALU_DEP_2)
	v_add_nc_u32_e32 v1, v1, v5
	v_pk_fma_f32 v[2:3], v[2:3], s[2:3], 0 op_sel_hi:[1,0,0]
	s_delay_alu instid0(VALU_DEP_1) | instskip(NEXT) | instid1(VALU_DEP_1)
	v_pk_mul_f32 v[2:3], v[2:3], v[2:3]
	v_dual_add_nc_u32 v5, -1, v1 :: v_dual_add_f32 v7, v2, v3
	s_delay_alu instid0(VALU_DEP_1) | instskip(NEXT) | instid1(VALU_DEP_2)
	v_cvt_f32_u32_e32 v5, v5
	v_cmp_gt_f32_e32 vcc_lo, 0xf800000, v7
	s_delay_alu instid0(VALU_DEP_2) | instskip(SKIP_1) | instid1(SALU_CYCLE_1)
	v_pk_fma_f32 v[2:3], v[4:5], s[2:3], 0 op_sel_hi:[1,0,0]
	s_add_co_i32 s3, s3, -2
	s_cmp_lg_u32 s3, 0
	s_delay_alu instid0(VALU_DEP_1) | instskip(NEXT) | instid1(VALU_DEP_1)
	v_pk_mul_f32 v[2:3], v[2:3], v[2:3]
	v_add_f32_e32 v2, v2, v3
	s_delay_alu instid0(VALU_DEP_1) | instskip(NEXT) | instid1(VALU_DEP_1)
	v_dual_mul_f32 v4, 0x4f800000, v7 :: v_dual_mul_f32 v5, 0x4f800000, v2
	v_cndmask_b32_e32 v4, v7, v4, vcc_lo
	v_cmp_gt_f32_e64 s0, 0xf800000, v2
	s_delay_alu instid0(VALU_DEP_2) | instskip(SKIP_1) | instid1(TRANS32_DEP_1)
	v_sqrt_f32_e32 v3, v4
	v_nop
	v_dual_add_nc_u32 v7, -1, v3 :: v_dual_cndmask_b32 v2, v2, v5, s0
	s_delay_alu instid0(VALU_DEP_1) | instskip(NEXT) | instid1(VALU_DEP_2)
	v_dual_add_nc_u32 v5, 1, v3 :: v_dual_fma_f32 v52, -v7, v3, v4
	v_sqrt_f32_e32 v53, v2
	s_delay_alu instid0(VALU_DEP_1) | instskip(NEXT) | instid1(VALU_DEP_2)
	v_fma_f32 v54, -v5, v3, v4
	v_cmp_ge_f32_e64 s1, 0, v52
	s_delay_alu instid0(TRANS32_DEP_1) | instid1(VALU_DEP_1)
	v_dual_cndmask_b32 v3, v3, v7, s1 :: v_dual_add_nc_u32 v7, -1, v53
	s_delay_alu instid0(VALU_DEP_3) | instskip(NEXT) | instid1(VALU_DEP_1)
	v_cmp_lt_f32_e64 s1, 0, v54
	v_cndmask_b32_e64 v3, v3, v5, s1
	s_delay_alu instid0(VALU_DEP_3) | instskip(NEXT) | instid1(VALU_DEP_1)
	v_dual_add_nc_u32 v5, 1, v53 :: v_dual_fma_f32 v52, -v7, v53, v2
	v_fma_f32 v55, -v5, v53, v2
	s_delay_alu instid0(VALU_DEP_2) | instskip(NEXT) | instid1(VALU_DEP_1)
	v_cmp_ge_f32_e64 s1, 0, v52
	v_cndmask_b32_e64 v7, v53, v7, s1
	v_mul_f32_e32 v54, 0x37800000, v3
	s_delay_alu instid0(VALU_DEP_4) | instskip(NEXT) | instid1(VALU_DEP_1)
	v_cmp_lt_f32_e64 s1, 0, v55
	v_cndmask_b32_e64 v5, v7, v5, s1
	s_delay_alu instid0(VALU_DEP_3) | instskip(SKIP_1) | instid1(VALU_DEP_2)
	v_cndmask_b32_e32 v3, v3, v54, vcc_lo
	v_cmp_class_f32_e64 vcc_lo, v4, 0x260
	v_dual_cndmask_b32 v3, v3, v4 :: v_dual_mul_f32 v4, 0x37800000, v5
	s_delay_alu instid0(VALU_DEP_1) | instskip(NEXT) | instid1(VALU_DEP_2)
	v_cmp_nge_f32_e32 vcc_lo, 1.0, v3
	v_dual_cndmask_b32 v4, v5, v4, s0 :: v_dual_cndmask_b32 v3, v6, v49, vcc_lo
	v_cmp_class_f32_e64 vcc_lo, v2, 0x260
	s_delay_alu instid0(VALU_DEP_2) | instskip(NEXT) | instid1(VALU_DEP_1)
	v_dual_add_f32 v5, 1.0, v3 :: v_dual_cndmask_b32 v2, v4, v2
	v_cmp_nge_f32_e32 vcc_lo, 1.0, v2
	s_delay_alu instid0(VALU_DEP_2)
	v_cndmask_b32_e32 v49, v5, v3, vcc_lo
	s_cbranch_scc1 .LBB27_573
; %bb.574:
	v_dual_mov_b32 v1, 1 :: v_dual_add_nc_u32 v2, 0x249f000, v0
	s_mov_b32 s1, 0
	s_mov_b32 s12, exec_lo
	s_delay_alu instid0(VALU_DEP_1)
	v_cmpx_ne_u32_e32 0, v2
	s_cbranch_execz .LBB27_580
; %bb.575:
	v_mov_b32_e32 v3, 0
	v_mov_b64_e32 v[6:7], 1
	s_mov_b64 s[8:9], 0xbc8f
	s_mov_b64 s[2:3], 0xfffffffd
	;; [unrolled: 1-line block ×3, first 2 shown]
	v_mov_b64_e32 v[4:5], v[2:3]
	s_mov_b64 s[6:7], 0x80000001
	s_mov_b32 s13, 0
	s_branch .LBB27_577
.LBB27_576:                             ;   in Loop: Header=BB27_577 Depth=1
	s_or_b32 exec_lo, exec_lo, s0
	s_mul_u64 s[8:9], s[8:9], s[8:9]
	s_mov_b32 s15, s1
	s_and_b64 s[16:17], s[8:9], s[2:3]
	s_mov_b32 s0, s9
	s_mul_u64 s[18:19], s[16:17], 3
	s_mul_u64 s[20:21], s[0:1], 3
	s_mov_b32 s14, s19
	s_mul_u64 s[16:17], s[16:17], s[6:7]
	s_add_nc_u64 s[14:15], s[20:21], s[14:15]
	v_lshrrev_b64 v[52:53], 1, v[4:5]
	s_and_b64 s[20:21], s[14:15], s[4:5]
	s_mov_b32 s19, s1
	s_add_nc_u64 s[16:17], s[16:17], s[20:21]
	s_mov_b32 s23, s1
	s_mov_b32 s18, s15
	;; [unrolled: 1-line block ×3, first 2 shown]
	s_mul_u64 s[16:17], s[0:1], s[6:7]
	s_add_nc_u64 s[14:15], s[18:19], s[22:23]
	v_cmp_gt_u64_e32 vcc_lo, 2, v[4:5]
	s_add_nc_u64 s[14:15], s[16:17], s[14:15]
	v_mov_b64_e32 v[4:5], v[52:53]
	s_lshr_b64 s[14:15], s[14:15], 30
	s_delay_alu instid0(SALU_CYCLE_1)
	s_mul_u64 s[14:15], s[14:15], 0x7fffffff
	s_or_b32 s13, vcc_lo, s13
	s_sub_nc_u64 s[8:9], s[8:9], s[14:15]
	s_and_not1_b32 exec_lo, exec_lo, s13
	s_cbranch_execz .LBB27_579
.LBB27_577:                             ; =>This Inner Loop Header: Depth=1
	s_delay_alu instid0(VALU_DEP_1) | instskip(SKIP_1) | instid1(VALU_DEP_1)
	v_and_b32_e32 v1, 1, v4
	s_mov_b32 s0, exec_lo
	v_cmpx_eq_u32_e32 1, v1
	s_cbranch_execz .LBB27_576
; %bb.578:                              ;   in Loop: Header=BB27_577 Depth=1
	v_mul_u64_e32 v[6:7], s[8:9], v[6:7]
	s_delay_alu instid0(VALU_DEP_1) | instskip(NEXT) | instid1(VALU_DEP_1)
	v_mov_b32_e32 v2, v6
	v_mul_u64_e32 v[52:53], 5, v[2:3]
	s_delay_alu instid0(VALU_DEP_1) | instskip(NEXT) | instid1(VALU_DEP_1)
	v_mov_b32_e32 v2, v53
	v_mad_nc_u64_u32 v[52:53], v7, 5, v[2:3]
	s_delay_alu instid0(VALU_DEP_1) | instskip(NEXT) | instid1(VALU_DEP_1)
	v_dual_mov_b32 v2, v53 :: v_dual_mov_b32 v53, v3
	v_mad_nc_u64_u32 v[52:53], v6, 2, v[52:53]
	s_delay_alu instid0(VALU_DEP_1) | instskip(NEXT) | instid1(VALU_DEP_1)
	v_dual_mov_b32 v52, v53 :: v_dual_mov_b32 v53, v3
	v_add_nc_u64_e32 v[52:53], v[2:3], v[52:53]
	s_delay_alu instid0(VALU_DEP_1) | instskip(NEXT) | instid1(VALU_DEP_1)
	v_mad_nc_u64_u32 v[52:53], v7, 2, v[52:53]
	v_sub_nc_u64_e32 v[54:55], v[6:7], v[52:53]
	s_delay_alu instid0(VALU_DEP_1) | instskip(NEXT) | instid1(VALU_DEP_1)
	v_lshrrev_b64 v[54:55], 1, v[54:55]
	v_add_nc_u64_e32 v[52:53], v[54:55], v[52:53]
	s_delay_alu instid0(VALU_DEP_1) | instskip(NEXT) | instid1(VALU_DEP_1)
	v_lshrrev_b64 v[52:53], 30, v[52:53]
	v_mul_u64_e32 v[52:53], 0x7fffffff, v[52:53]
	s_delay_alu instid0(VALU_DEP_1)
	v_sub_nc_u64_e32 v[6:7], v[6:7], v[52:53]
	s_branch .LBB27_576
.LBB27_579:
	s_or_b32 exec_lo, exec_lo, s13
	v_add_min_u32_e64 v1, 0x80000001, v6, v6
	s_delay_alu instid0(VALU_DEP_1)
	v_add_min_u32_e64 v1, 0x80000001, v1, v1
.LBB27_580:
	s_or_b32 exec_lo, exec_lo, s12
	v_mov_b32_e32 v6, 0
	s_movk_i32 s3, 0x1388
	s_brev_b32 s2, 12
.LBB27_581:                             ; =>This Inner Loop Header: Depth=1
	v_mul_hi_u32 v2, 0xbc8f1391, v1
	s_delay_alu instid0(VALU_DEP_1) | instskip(NEXT) | instid1(VALU_DEP_1)
	v_lshrrev_b32_e32 v2, 15, v2
	v_mul_u32_u24_e32 v3, 0xadc8, v2
	s_delay_alu instid0(VALU_DEP_1) | instskip(SKIP_1) | instid1(VALU_DEP_2)
	v_sub_nc_u32_e32 v1, v1, v3
	v_mul_u32_u24_e32 v2, 0xd47, v2
	v_mul_lo_u32 v1, 0xbc8f, v1
	s_delay_alu instid0(VALU_DEP_2) | instskip(SKIP_1) | instid1(VALU_DEP_3)
	v_xor_b32_e32 v3, 0x7fffffff, v2
	v_sub_nc_u32_e32 v4, 0, v2
	v_cmp_lt_u32_e32 vcc_lo, v1, v2
	s_delay_alu instid0(VALU_DEP_2) | instskip(NEXT) | instid1(VALU_DEP_1)
	v_cndmask_b32_e32 v2, v4, v3, vcc_lo
	v_add_nc_u32_e32 v1, v2, v1
	s_delay_alu instid0(VALU_DEP_1) | instskip(NEXT) | instid1(VALU_DEP_1)
	v_mul_hi_u32 v2, 0xbc8f1391, v1
	v_lshrrev_b32_e32 v2, 15, v2
	s_delay_alu instid0(VALU_DEP_1) | instskip(SKIP_1) | instid1(VALU_DEP_2)
	v_mul_u32_u24_e32 v3, 0xadc8, v2
	v_mul_u32_u24_e32 v2, 0xd47, v2
	v_sub_nc_u32_e32 v3, v1, v3
	s_delay_alu instid0(VALU_DEP_2) | instskip(SKIP_1) | instid1(VALU_DEP_3)
	v_xor_b32_e32 v4, 0x7fffffff, v2
	v_add_nc_u32_e32 v1, -1, v1
	v_mul_lo_u32 v3, 0xbc8f, v3
	v_sub_nc_u32_e32 v5, 0, v2
	s_delay_alu instid0(VALU_DEP_2) | instskip(NEXT) | instid1(VALU_DEP_2)
	v_cmp_lt_u32_e32 vcc_lo, v3, v2
	v_cndmask_b32_e32 v2, v5, v4, vcc_lo
	s_delay_alu instid0(VALU_DEP_1) | instskip(NEXT) | instid1(VALU_DEP_1)
	v_add_nc_u32_e32 v3, v2, v3
	v_mul_hi_u32 v2, 0xbc8f1391, v3
	s_delay_alu instid0(VALU_DEP_1) | instskip(NEXT) | instid1(VALU_DEP_1)
	v_lshrrev_b32_e32 v2, 15, v2
	v_mul_u32_u24_e32 v4, 0xadc8, v2
	v_mul_u32_u24_e32 v2, 0xd47, v2
	s_delay_alu instid0(VALU_DEP_2) | instskip(NEXT) | instid1(VALU_DEP_2)
	v_sub_nc_u32_e32 v4, v3, v4
	v_xor_b32_e32 v5, 0x7fffffff, v2
	s_delay_alu instid0(VALU_DEP_2) | instskip(SKIP_1) | instid1(VALU_DEP_2)
	v_mul_lo_u32 v4, 0xbc8f, v4
	v_sub_nc_u32_e32 v7, 0, v2
	v_cmp_lt_u32_e32 vcc_lo, v4, v2
	s_delay_alu instid0(VALU_DEP_2) | instskip(NEXT) | instid1(VALU_DEP_1)
	v_dual_cndmask_b32 v2, v7, v5 :: v_dual_add_f32 v7, 1.0, v6
	v_add_nc_u32_e32 v4, v2, v4
	s_delay_alu instid0(VALU_DEP_1) | instskip(NEXT) | instid1(VALU_DEP_1)
	v_mul_hi_u32 v2, 0xbc8f1391, v4
	v_lshrrev_b32_e32 v2, 15, v2
	s_delay_alu instid0(VALU_DEP_1) | instskip(SKIP_2) | instid1(VALU_DEP_3)
	v_mul_u32_u24_e32 v5, 0xadc8, v2
	v_mul_u32_u24_e32 v52, 0xd47, v2
	v_cvt_f32_u32_e32 v2, v1
	v_sub_nc_u32_e32 v5, v4, v5
	s_delay_alu instid0(VALU_DEP_3) | instskip(SKIP_2) | instid1(VALU_DEP_4)
	v_xor_b32_e32 v1, 0x7fffffff, v52
	v_sub_nc_u32_e32 v53, 0, v52
	v_add_nc_u32_e32 v4, -1, v4
	v_mul_lo_u32 v5, 0xbc8f, v5
	s_delay_alu instid0(VALU_DEP_2) | instskip(NEXT) | instid1(VALU_DEP_2)
	v_cvt_f32_u32_e32 v4, v4
	v_cmp_lt_u32_e32 vcc_lo, v5, v52
	v_dual_add_nc_u32 v3, -1, v3 :: v_dual_cndmask_b32 v1, v53, v1, vcc_lo
	s_delay_alu instid0(VALU_DEP_1) | instskip(NEXT) | instid1(VALU_DEP_2)
	v_cvt_f32_u32_e32 v3, v3
	v_add_nc_u32_e32 v1, v1, v5
	s_delay_alu instid0(VALU_DEP_2) | instskip(NEXT) | instid1(VALU_DEP_1)
	v_pk_fma_f32 v[2:3], v[2:3], s[2:3], 0 op_sel_hi:[1,0,0]
	v_pk_mul_f32 v[2:3], v[2:3], v[2:3]
	s_delay_alu instid0(VALU_DEP_1) | instskip(NEXT) | instid1(VALU_DEP_1)
	v_dual_add_f32 v52, v2, v3 :: v_dual_add_nc_u32 v5, -1, v1
	v_cvt_f32_u32_e32 v5, v5
	s_delay_alu instid0(VALU_DEP_2) | instskip(NEXT) | instid1(VALU_DEP_2)
	v_cmp_gt_f32_e32 vcc_lo, 0xf800000, v52
	v_pk_fma_f32 v[2:3], v[4:5], s[2:3], 0 op_sel_hi:[1,0,0]
	s_add_co_i32 s3, s3, -2
	s_delay_alu instid0(SALU_CYCLE_1) | instskip(NEXT) | instid1(VALU_DEP_1)
	s_cmp_lg_u32 s3, 0
	v_pk_mul_f32 v[2:3], v[2:3], v[2:3]
	s_delay_alu instid0(VALU_DEP_1) | instskip(NEXT) | instid1(VALU_DEP_1)
	v_add_f32_e32 v2, v2, v3
	v_dual_mul_f32 v4, 0x4f800000, v52 :: v_dual_mul_f32 v5, 0x4f800000, v2
	s_delay_alu instid0(VALU_DEP_1) | instskip(SKIP_1) | instid1(VALU_DEP_2)
	v_cndmask_b32_e32 v4, v52, v4, vcc_lo
	v_cmp_gt_f32_e64 s0, 0xf800000, v2
	v_sqrt_f32_e32 v3, v4
	v_nop
	s_delay_alu instid0(TRANS32_DEP_1) | instskip(NEXT) | instid1(VALU_DEP_1)
	v_dual_add_nc_u32 v52, -1, v3 :: v_dual_cndmask_b32 v2, v2, v5, s0
	v_dual_add_nc_u32 v5, 1, v3 :: v_dual_fma_f32 v53, -v52, v3, v4
	s_delay_alu instid0(VALU_DEP_2) | instskip(NEXT) | instid1(VALU_DEP_1)
	v_sqrt_f32_e32 v54, v2
	v_cmp_ge_f32_e64 s1, 0, v53
	s_delay_alu instid0(VALU_DEP_1) | instskip(NEXT) | instid1(VALU_DEP_1)
	v_dual_fma_f32 v55, -v5, v3, v4 :: v_dual_cndmask_b32 v3, v3, v52, s1
	v_cmp_lt_f32_e64 s1, 0, v55
	s_delay_alu instid0(TRANS32_DEP_1) | instid1(VALU_DEP_1)
	v_dual_add_nc_u32 v52, -1, v54 :: v_dual_cndmask_b32 v3, v3, v5, s1
	s_delay_alu instid0(VALU_DEP_1) | instskip(NEXT) | instid1(VALU_DEP_1)
	v_dual_add_nc_u32 v5, 1, v54 :: v_dual_fma_f32 v53, -v52, v54, v2
	v_cmp_ge_f32_e64 s1, 0, v53
	s_delay_alu instid0(VALU_DEP_1) | instskip(NEXT) | instid1(VALU_DEP_1)
	v_dual_fma_f32 v64, -v5, v54, v2 :: v_dual_cndmask_b32 v52, v54, v52, s1
	v_cmp_lt_f32_e64 s1, 0, v64
	s_delay_alu instid0(VALU_DEP_1) | instskip(SKIP_1) | instid1(VALU_DEP_1)
	v_cndmask_b32_e64 v5, v52, v5, s1
	v_mul_f32_e32 v55, 0x37800000, v3
	v_cndmask_b32_e32 v3, v3, v55, vcc_lo
	v_cmp_class_f32_e64 vcc_lo, v4, 0x260
	s_delay_alu instid0(VALU_DEP_2) | instskip(NEXT) | instid1(VALU_DEP_1)
	v_dual_cndmask_b32 v3, v3, v4 :: v_dual_mul_f32 v4, 0x37800000, v5
	v_cmp_nge_f32_e32 vcc_lo, 1.0, v3
	s_delay_alu instid0(VALU_DEP_2) | instskip(SKIP_1) | instid1(VALU_DEP_2)
	v_dual_cndmask_b32 v4, v5, v4, s0 :: v_dual_cndmask_b32 v3, v7, v6, vcc_lo
	v_cmp_class_f32_e64 vcc_lo, v2, 0x260
	v_dual_add_f32 v5, 1.0, v3 :: v_dual_cndmask_b32 v2, v4, v2
	s_delay_alu instid0(VALU_DEP_1) | instskip(NEXT) | instid1(VALU_DEP_2)
	v_cmp_nge_f32_e32 vcc_lo, 1.0, v2
	v_cndmask_b32_e32 v6, v5, v3, vcc_lo
	s_cbranch_scc1 .LBB27_581
; %bb.582:
	v_dual_mov_b32 v1, 1 :: v_dual_add_nc_u32 v0, 0x25d7800, v0
	s_mov_b32 s1, 0
	s_mov_b32 s12, exec_lo
	s_delay_alu instid0(VALU_DEP_1)
	v_cmpx_ne_u32_e32 0, v0
	s_cbranch_execz .LBB27_588
; %bb.583:
	v_mov_b32_e32 v1, 0
	v_mov_b64_e32 v[4:5], 1
	s_mov_b64 s[8:9], 0xbc8f
	s_mov_b64 s[2:3], 0xfffffffd
	;; [unrolled: 1-line block ×3, first 2 shown]
	v_mov_b64_e32 v[2:3], v[0:1]
	s_mov_b64 s[6:7], 0x80000001
	s_mov_b32 s13, 0
	s_branch .LBB27_585
.LBB27_584:                             ;   in Loop: Header=BB27_585 Depth=1
	s_or_b32 exec_lo, exec_lo, s0
	s_mul_u64 s[8:9], s[8:9], s[8:9]
	s_mov_b32 s15, s1
	s_and_b64 s[16:17], s[8:9], s[2:3]
	s_mov_b32 s0, s9
	s_mul_u64 s[18:19], s[16:17], 3
	s_mul_u64 s[20:21], s[0:1], 3
	s_mov_b32 s14, s19
	s_mul_u64 s[16:17], s[16:17], s[6:7]
	s_add_nc_u64 s[14:15], s[20:21], s[14:15]
	v_lshrrev_b64 v[52:53], 1, v[2:3]
	s_and_b64 s[20:21], s[14:15], s[4:5]
	s_mov_b32 s19, s1
	s_add_nc_u64 s[16:17], s[16:17], s[20:21]
	s_mov_b32 s23, s1
	s_mov_b32 s18, s15
	;; [unrolled: 1-line block ×3, first 2 shown]
	s_mul_u64 s[16:17], s[0:1], s[6:7]
	s_add_nc_u64 s[14:15], s[18:19], s[22:23]
	v_cmp_gt_u64_e32 vcc_lo, 2, v[2:3]
	s_add_nc_u64 s[14:15], s[16:17], s[14:15]
	v_mov_b64_e32 v[2:3], v[52:53]
	s_lshr_b64 s[14:15], s[14:15], 30
	s_delay_alu instid0(SALU_CYCLE_1)
	s_mul_u64 s[14:15], s[14:15], 0x7fffffff
	s_or_b32 s13, vcc_lo, s13
	s_sub_nc_u64 s[8:9], s[8:9], s[14:15]
	s_and_not1_b32 exec_lo, exec_lo, s13
	s_cbranch_execz .LBB27_587
.LBB27_585:                             ; =>This Inner Loop Header: Depth=1
	s_delay_alu instid0(VALU_DEP_1) | instskip(SKIP_1) | instid1(VALU_DEP_1)
	v_and_b32_e32 v0, 1, v2
	s_mov_b32 s0, exec_lo
	v_cmpx_eq_u32_e32 1, v0
	s_cbranch_execz .LBB27_584
; %bb.586:                              ;   in Loop: Header=BB27_585 Depth=1
	v_mul_u64_e32 v[4:5], s[8:9], v[4:5]
	s_delay_alu instid0(VALU_DEP_1) | instskip(NEXT) | instid1(VALU_DEP_1)
	v_mov_b32_e32 v0, v4
	v_mul_u64_e32 v[52:53], 5, v[0:1]
	s_delay_alu instid0(VALU_DEP_1) | instskip(NEXT) | instid1(VALU_DEP_1)
	v_mov_b32_e32 v0, v53
	v_mad_nc_u64_u32 v[52:53], v5, 5, v[0:1]
	s_delay_alu instid0(VALU_DEP_1) | instskip(NEXT) | instid1(VALU_DEP_1)
	v_dual_mov_b32 v0, v53 :: v_dual_mov_b32 v53, v1
	v_mad_nc_u64_u32 v[52:53], v4, 2, v[52:53]
	s_delay_alu instid0(VALU_DEP_1) | instskip(NEXT) | instid1(VALU_DEP_1)
	v_dual_mov_b32 v52, v53 :: v_dual_mov_b32 v53, v1
	v_add_nc_u64_e32 v[52:53], v[0:1], v[52:53]
	s_delay_alu instid0(VALU_DEP_1) | instskip(NEXT) | instid1(VALU_DEP_1)
	v_mad_nc_u64_u32 v[52:53], v5, 2, v[52:53]
	v_sub_nc_u64_e32 v[54:55], v[4:5], v[52:53]
	s_delay_alu instid0(VALU_DEP_1) | instskip(NEXT) | instid1(VALU_DEP_1)
	v_lshrrev_b64 v[54:55], 1, v[54:55]
	v_add_nc_u64_e32 v[52:53], v[54:55], v[52:53]
	s_delay_alu instid0(VALU_DEP_1) | instskip(NEXT) | instid1(VALU_DEP_1)
	v_lshrrev_b64 v[52:53], 30, v[52:53]
	v_mul_u64_e32 v[52:53], 0x7fffffff, v[52:53]
	s_delay_alu instid0(VALU_DEP_1)
	v_sub_nc_u64_e32 v[4:5], v[4:5], v[52:53]
	s_branch .LBB27_584
.LBB27_587:
	s_or_b32 exec_lo, exec_lo, s13
	v_add_min_u32_e64 v0, 0x80000001, v4, v4
	s_delay_alu instid0(VALU_DEP_1)
	v_add_min_u32_e64 v1, 0x80000001, v0, v0
.LBB27_588:
	s_or_b32 exec_lo, exec_lo, s12
	v_mov_b32_e32 v0, 0
	s_movk_i32 s3, 0x1388
	s_brev_b32 s2, 12
.LBB27_589:                             ; =>This Inner Loop Header: Depth=1
	v_mul_hi_u32 v2, 0xbc8f1391, v1
	s_delay_alu instid0(VALU_DEP_1) | instskip(NEXT) | instid1(VALU_DEP_1)
	v_lshrrev_b32_e32 v2, 15, v2
	v_mul_u32_u24_e32 v3, 0xadc8, v2
	s_delay_alu instid0(VALU_DEP_1) | instskip(SKIP_1) | instid1(VALU_DEP_2)
	v_sub_nc_u32_e32 v1, v1, v3
	v_mul_u32_u24_e32 v2, 0xd47, v2
	v_mul_lo_u32 v1, 0xbc8f, v1
	s_delay_alu instid0(VALU_DEP_2) | instskip(SKIP_1) | instid1(VALU_DEP_3)
	v_xor_b32_e32 v3, 0x7fffffff, v2
	v_sub_nc_u32_e32 v4, 0, v2
	v_cmp_lt_u32_e32 vcc_lo, v1, v2
	s_delay_alu instid0(VALU_DEP_2) | instskip(NEXT) | instid1(VALU_DEP_1)
	v_cndmask_b32_e32 v2, v4, v3, vcc_lo
	v_add_nc_u32_e32 v1, v2, v1
	s_delay_alu instid0(VALU_DEP_1) | instskip(NEXT) | instid1(VALU_DEP_1)
	v_mul_hi_u32 v2, 0xbc8f1391, v1
	v_lshrrev_b32_e32 v2, 15, v2
	s_delay_alu instid0(VALU_DEP_1) | instskip(SKIP_1) | instid1(VALU_DEP_2)
	v_mul_u32_u24_e32 v3, 0xadc8, v2
	v_mul_u32_u24_e32 v2, 0xd47, v2
	v_sub_nc_u32_e32 v3, v1, v3
	s_delay_alu instid0(VALU_DEP_2) | instskip(SKIP_1) | instid1(VALU_DEP_3)
	v_xor_b32_e32 v4, 0x7fffffff, v2
	v_add_nc_u32_e32 v1, -1, v1
	v_mul_lo_u32 v3, 0xbc8f, v3
	v_sub_nc_u32_e32 v5, 0, v2
	s_delay_alu instid0(VALU_DEP_2) | instskip(NEXT) | instid1(VALU_DEP_2)
	v_cmp_lt_u32_e32 vcc_lo, v3, v2
	v_cndmask_b32_e32 v2, v5, v4, vcc_lo
	s_delay_alu instid0(VALU_DEP_1) | instskip(NEXT) | instid1(VALU_DEP_1)
	v_add_nc_u32_e32 v3, v2, v3
	v_mul_hi_u32 v2, 0xbc8f1391, v3
	s_delay_alu instid0(VALU_DEP_1) | instskip(NEXT) | instid1(VALU_DEP_1)
	v_lshrrev_b32_e32 v2, 15, v2
	v_mul_u32_u24_e32 v4, 0xadc8, v2
	v_mul_u32_u24_e32 v2, 0xd47, v2
	s_delay_alu instid0(VALU_DEP_2) | instskip(NEXT) | instid1(VALU_DEP_2)
	v_sub_nc_u32_e32 v4, v3, v4
	v_xor_b32_e32 v5, 0x7fffffff, v2
	s_delay_alu instid0(VALU_DEP_2) | instskip(SKIP_1) | instid1(VALU_DEP_2)
	v_mul_lo_u32 v4, 0xbc8f, v4
	v_sub_nc_u32_e32 v7, 0, v2
	v_cmp_lt_u32_e32 vcc_lo, v4, v2
	s_delay_alu instid0(VALU_DEP_2) | instskip(NEXT) | instid1(VALU_DEP_1)
	v_dual_cndmask_b32 v2, v7, v5 :: v_dual_add_f32 v7, 1.0, v0
	v_add_nc_u32_e32 v4, v2, v4
	s_delay_alu instid0(VALU_DEP_1) | instskip(NEXT) | instid1(VALU_DEP_1)
	v_mul_hi_u32 v2, 0xbc8f1391, v4
	v_lshrrev_b32_e32 v2, 15, v2
	s_delay_alu instid0(VALU_DEP_1) | instskip(SKIP_2) | instid1(VALU_DEP_3)
	v_mul_u32_u24_e32 v5, 0xadc8, v2
	v_mul_u32_u24_e32 v52, 0xd47, v2
	v_cvt_f32_u32_e32 v2, v1
	v_sub_nc_u32_e32 v5, v4, v5
	s_delay_alu instid0(VALU_DEP_3) | instskip(SKIP_2) | instid1(VALU_DEP_4)
	v_xor_b32_e32 v1, 0x7fffffff, v52
	v_sub_nc_u32_e32 v53, 0, v52
	v_add_nc_u32_e32 v4, -1, v4
	v_mul_lo_u32 v5, 0xbc8f, v5
	s_delay_alu instid0(VALU_DEP_2) | instskip(NEXT) | instid1(VALU_DEP_2)
	v_cvt_f32_u32_e32 v4, v4
	v_cmp_lt_u32_e32 vcc_lo, v5, v52
	v_dual_add_nc_u32 v3, -1, v3 :: v_dual_cndmask_b32 v1, v53, v1, vcc_lo
	s_delay_alu instid0(VALU_DEP_1) | instskip(NEXT) | instid1(VALU_DEP_2)
	v_cvt_f32_u32_e32 v3, v3
	v_add_nc_u32_e32 v1, v1, v5
	s_delay_alu instid0(VALU_DEP_2) | instskip(NEXT) | instid1(VALU_DEP_1)
	v_pk_fma_f32 v[2:3], v[2:3], s[2:3], 0 op_sel_hi:[1,0,0]
	v_pk_mul_f32 v[2:3], v[2:3], v[2:3]
	s_delay_alu instid0(VALU_DEP_1) | instskip(NEXT) | instid1(VALU_DEP_1)
	v_dual_add_f32 v52, v2, v3 :: v_dual_add_nc_u32 v5, -1, v1
	v_cvt_f32_u32_e32 v5, v5
	s_delay_alu instid0(VALU_DEP_2) | instskip(NEXT) | instid1(VALU_DEP_2)
	v_cmp_gt_f32_e32 vcc_lo, 0xf800000, v52
	v_pk_fma_f32 v[2:3], v[4:5], s[2:3], 0 op_sel_hi:[1,0,0]
	s_add_co_i32 s3, s3, -2
	s_delay_alu instid0(SALU_CYCLE_1) | instskip(NEXT) | instid1(VALU_DEP_1)
	s_cmp_lg_u32 s3, 0
	v_pk_mul_f32 v[2:3], v[2:3], v[2:3]
	s_delay_alu instid0(VALU_DEP_1) | instskip(NEXT) | instid1(VALU_DEP_1)
	v_add_f32_e32 v2, v2, v3
	v_dual_mul_f32 v4, 0x4f800000, v52 :: v_dual_mul_f32 v5, 0x4f800000, v2
	s_delay_alu instid0(VALU_DEP_1) | instskip(SKIP_1) | instid1(VALU_DEP_2)
	v_cndmask_b32_e32 v4, v52, v4, vcc_lo
	v_cmp_gt_f32_e64 s0, 0xf800000, v2
	v_sqrt_f32_e32 v3, v4
	v_nop
	s_delay_alu instid0(TRANS32_DEP_1) | instskip(NEXT) | instid1(VALU_DEP_1)
	v_dual_add_nc_u32 v52, -1, v3 :: v_dual_cndmask_b32 v2, v2, v5, s0
	v_dual_add_nc_u32 v5, 1, v3 :: v_dual_fma_f32 v53, -v52, v3, v4
	s_delay_alu instid0(VALU_DEP_2) | instskip(NEXT) | instid1(VALU_DEP_1)
	v_sqrt_f32_e32 v54, v2
	v_cmp_ge_f32_e64 s1, 0, v53
	s_delay_alu instid0(VALU_DEP_1) | instskip(NEXT) | instid1(VALU_DEP_1)
	v_dual_fma_f32 v55, -v5, v3, v4 :: v_dual_cndmask_b32 v3, v3, v52, s1
	v_cmp_lt_f32_e64 s1, 0, v55
	s_delay_alu instid0(TRANS32_DEP_1) | instid1(VALU_DEP_1)
	v_dual_add_nc_u32 v52, -1, v54 :: v_dual_cndmask_b32 v3, v3, v5, s1
	s_delay_alu instid0(VALU_DEP_1) | instskip(NEXT) | instid1(VALU_DEP_1)
	v_dual_add_nc_u32 v5, 1, v54 :: v_dual_fma_f32 v53, -v52, v54, v2
	v_cmp_ge_f32_e64 s1, 0, v53
	s_delay_alu instid0(VALU_DEP_1) | instskip(NEXT) | instid1(VALU_DEP_1)
	v_dual_fma_f32 v64, -v5, v54, v2 :: v_dual_cndmask_b32 v52, v54, v52, s1
	v_cmp_lt_f32_e64 s1, 0, v64
	s_delay_alu instid0(VALU_DEP_1) | instskip(SKIP_1) | instid1(VALU_DEP_1)
	v_cndmask_b32_e64 v5, v52, v5, s1
	v_mul_f32_e32 v55, 0x37800000, v3
	v_cndmask_b32_e32 v3, v3, v55, vcc_lo
	v_cmp_class_f32_e64 vcc_lo, v4, 0x260
	s_delay_alu instid0(VALU_DEP_2) | instskip(NEXT) | instid1(VALU_DEP_1)
	v_dual_cndmask_b32 v3, v3, v4 :: v_dual_mul_f32 v4, 0x37800000, v5
	v_cmp_nge_f32_e32 vcc_lo, 1.0, v3
	s_delay_alu instid0(VALU_DEP_2) | instskip(SKIP_2) | instid1(VALU_DEP_1)
	v_cndmask_b32_e64 v3, v5, v4, s0
	v_cndmask_b32_e32 v0, v7, v0, vcc_lo
	v_cmp_class_f32_e64 vcc_lo, v2, 0x260
	v_dual_add_f32 v4, 1.0, v0 :: v_dual_cndmask_b32 v2, v3, v2, vcc_lo
	s_delay_alu instid0(VALU_DEP_1) | instskip(NEXT) | instid1(VALU_DEP_2)
	v_cmp_nge_f32_e32 vcc_lo, 1.0, v2
	v_cndmask_b32_e32 v0, v4, v0, vcc_lo
	s_cbranch_scc1 .LBB27_589
; %bb.590:
	v_dual_mul_f32 v1, 4.0, v6 :: v_dual_mul_f32 v29, 4.0, v29
	v_mul_f32_e32 v25, 4.0, v25
	v_mul_f32_e32 v21, 4.0, v21
	;; [unrolled: 1-line block ×3, first 2 shown]
	s_delay_alu instid0(VALU_DEP_4) | instskip(SKIP_3) | instid1(VALU_DEP_3)
	v_div_scale_f32 v2, null, 0x459c4000, 0x459c4000, v1
	v_mul_f32_e32 v13, 4.0, v13
	v_mul_f32_e32 v9, 4.0, v9
	s_mov_b32 s0, exec_lo
	v_rcp_f32_e32 v3, v2
	v_dual_mul_f32 v31, 4.0, v31 :: v_dual_mul_f32 v30, 4.0, v30
	v_dual_mul_f32 v28, 4.0, v28 :: v_dual_mul_f32 v27, 4.0, v27
	;; [unrolled: 1-line block ×3, first 2 shown]
	s_delay_alu instid0(TRANS32_DEP_1) | instskip(SKIP_2) | instid1(VALU_DEP_3)
	v_fma_f32 v4, -v2, v3, 1.0
	v_dual_mul_f32 v23, 4.0, v23 :: v_dual_mul_f32 v22, 4.0, v22
	v_dual_mul_f32 v20, 4.0, v20 :: v_dual_mul_f32 v19, 4.0, v19
	v_fmac_f32_e32 v3, v4, v3
	v_div_scale_f32 v4, vcc_lo, v1, 0x459c4000, v1
	v_dual_mul_f32 v18, 4.0, v18 :: v_dual_mul_f32 v16, 4.0, v16
	v_mul_f32_e32 v15, 4.0, v15
	s_delay_alu instid0(VALU_DEP_3) | instskip(SKIP_1) | instid1(VALU_DEP_2)
	v_dual_mul_f32 v5, v4, v3 :: v_dual_mul_f32 v14, 4.0, v14
	v_dual_mul_f32 v12, 4.0, v12 :: v_dual_mul_f32 v11, 4.0, v11
	v_dual_mul_f32 v10, 4.0, v10 :: v_dual_fma_f32 v6, -v2, v5, v4
	v_mul_f32_e32 v8, 4.0, v8
	s_delay_alu instid0(VALU_DEP_2) | instskip(NEXT) | instid1(VALU_DEP_1)
	v_dual_mul_f32 v0, 4.0, v0 :: v_dual_fmac_f32 v5, v6, v3
	v_fma_f32 v2, -v2, v5, v4
	s_delay_alu instid0(VALU_DEP_1) | instskip(NEXT) | instid1(VALU_DEP_1)
	v_div_fmas_f32 v2, v2, v3, v5
	v_div_fixup_f32 v1, v2, 0x459c4000, v1
	v_mul_f32_e32 v2, 4.0, v49
	s_delay_alu instid0(VALU_DEP_1) | instskip(NEXT) | instid1(VALU_DEP_1)
	v_div_scale_f32 v3, null, 0x459c4000, 0x459c4000, v2
	v_rcp_f32_e32 v4, v3
	v_nop
	s_delay_alu instid0(TRANS32_DEP_1) | instskip(NEXT) | instid1(VALU_DEP_1)
	v_fma_f32 v5, -v3, v4, 1.0
	v_fmac_f32_e32 v4, v5, v4
	v_div_scale_f32 v5, vcc_lo, v2, 0x459c4000, v2
	s_delay_alu instid0(VALU_DEP_1) | instskip(NEXT) | instid1(VALU_DEP_1)
	v_mul_f32_e32 v6, v5, v4
	v_fma_f32 v7, -v3, v6, v5
	s_delay_alu instid0(VALU_DEP_1) | instskip(NEXT) | instid1(VALU_DEP_1)
	v_fmac_f32_e32 v6, v7, v4
	v_fma_f32 v3, -v3, v6, v5
	s_delay_alu instid0(VALU_DEP_1) | instskip(NEXT) | instid1(VALU_DEP_1)
	v_div_fmas_f32 v3, v3, v4, v6
	v_div_fixup_f32 v2, v3, 0x459c4000, v2
	v_mul_f32_e32 v3, 4.0, v48
	s_delay_alu instid0(VALU_DEP_1) | instskip(NEXT) | instid1(VALU_DEP_1)
	v_div_scale_f32 v4, null, 0x459c4000, 0x459c4000, v3
	v_rcp_f32_e32 v5, v4
	v_nop
	s_delay_alu instid0(TRANS32_DEP_1) | instskip(NEXT) | instid1(VALU_DEP_1)
	v_fma_f32 v6, -v4, v5, 1.0
	v_fmac_f32_e32 v5, v6, v5
	v_div_scale_f32 v6, vcc_lo, v3, 0x459c4000, v3
	s_delay_alu instid0(VALU_DEP_1) | instskip(NEXT) | instid1(VALU_DEP_1)
	v_mul_f32_e32 v7, v6, v5
	v_fma_f32 v48, -v4, v7, v6
	s_delay_alu instid0(VALU_DEP_1) | instskip(NEXT) | instid1(VALU_DEP_1)
	v_fmac_f32_e32 v7, v48, v5
	;; [unrolled: 18-line block ×6, first 2 shown]
	v_fma_f32 v36, -v36, v39, v38
	s_delay_alu instid0(VALU_DEP_1) | instskip(NEXT) | instid1(VALU_DEP_1)
	v_div_fmas_f32 v36, v36, v37, v39
	v_div_fixup_f32 v7, v36, 0x459c4000, v7
	v_div_scale_f32 v36, null, 0x459c4000, 0x459c4000, v31
	s_delay_alu instid0(VALU_DEP_1) | instskip(SKIP_1) | instid1(TRANS32_DEP_1)
	v_rcp_f32_e32 v37, v36
	v_nop
	v_fma_f32 v38, -v36, v37, 1.0
	s_delay_alu instid0(VALU_DEP_1) | instskip(SKIP_1) | instid1(VALU_DEP_1)
	v_fmac_f32_e32 v37, v38, v37
	v_div_scale_f32 v38, vcc_lo, v31, 0x459c4000, v31
	v_mul_f32_e32 v39, v38, v37
	s_delay_alu instid0(VALU_DEP_1) | instskip(NEXT) | instid1(VALU_DEP_1)
	v_fma_f32 v48, -v36, v39, v38
	v_fmac_f32_e32 v39, v48, v37
	s_delay_alu instid0(VALU_DEP_1) | instskip(NEXT) | instid1(VALU_DEP_1)
	v_fma_f32 v36, -v36, v39, v38
	v_div_fmas_f32 v36, v36, v37, v39
	s_delay_alu instid0(VALU_DEP_1) | instskip(SKIP_1) | instid1(VALU_DEP_1)
	v_div_fixup_f32 v31, v36, 0x459c4000, v31
	v_div_scale_f32 v36, null, 0x459c4000, 0x459c4000, v30
	v_rcp_f32_e32 v37, v36
	v_nop
	s_delay_alu instid0(TRANS32_DEP_1) | instskip(NEXT) | instid1(VALU_DEP_1)
	v_fma_f32 v38, -v36, v37, 1.0
	v_fmac_f32_e32 v37, v38, v37
	v_div_scale_f32 v38, vcc_lo, v30, 0x459c4000, v30
	s_delay_alu instid0(VALU_DEP_1) | instskip(NEXT) | instid1(VALU_DEP_1)
	v_mul_f32_e32 v39, v38, v37
	v_fma_f32 v48, -v36, v39, v38
	s_delay_alu instid0(VALU_DEP_1) | instskip(NEXT) | instid1(VALU_DEP_1)
	v_fmac_f32_e32 v39, v48, v37
	v_fma_f32 v36, -v36, v39, v38
	s_delay_alu instid0(VALU_DEP_1) | instskip(NEXT) | instid1(VALU_DEP_1)
	v_div_fmas_f32 v36, v36, v37, v39
	v_div_fixup_f32 v30, v36, 0x459c4000, v30
	v_div_scale_f32 v36, null, 0x459c4000, 0x459c4000, v29
	s_delay_alu instid0(VALU_DEP_1) | instskip(SKIP_1) | instid1(TRANS32_DEP_1)
	v_rcp_f32_e32 v37, v36
	v_nop
	v_fma_f32 v38, -v36, v37, 1.0
	s_delay_alu instid0(VALU_DEP_1) | instskip(SKIP_1) | instid1(VALU_DEP_1)
	v_fmac_f32_e32 v37, v38, v37
	v_div_scale_f32 v38, vcc_lo, v29, 0x459c4000, v29
	v_mul_f32_e32 v39, v38, v37
	s_delay_alu instid0(VALU_DEP_1) | instskip(NEXT) | instid1(VALU_DEP_1)
	v_fma_f32 v48, -v36, v39, v38
	v_fmac_f32_e32 v39, v48, v37
	s_delay_alu instid0(VALU_DEP_1) | instskip(NEXT) | instid1(VALU_DEP_1)
	v_fma_f32 v36, -v36, v39, v38
	v_div_fmas_f32 v36, v36, v37, v39
	s_delay_alu instid0(VALU_DEP_1) | instskip(SKIP_1) | instid1(VALU_DEP_1)
	v_div_fixup_f32 v29, v36, 0x459c4000, v29
	v_div_scale_f32 v36, null, 0x459c4000, 0x459c4000, v28
	v_rcp_f32_e32 v37, v36
	v_nop
	s_delay_alu instid0(TRANS32_DEP_1) | instskip(NEXT) | instid1(VALU_DEP_1)
	v_fma_f32 v38, -v36, v37, 1.0
	v_fmac_f32_e32 v37, v38, v37
	v_div_scale_f32 v38, vcc_lo, v28, 0x459c4000, v28
	s_delay_alu instid0(VALU_DEP_1) | instskip(NEXT) | instid1(VALU_DEP_1)
	v_mul_f32_e32 v39, v38, v37
	v_fma_f32 v48, -v36, v39, v38
	s_delay_alu instid0(VALU_DEP_1) | instskip(NEXT) | instid1(VALU_DEP_1)
	v_fmac_f32_e32 v39, v48, v37
	v_fma_f32 v36, -v36, v39, v38
	s_delay_alu instid0(VALU_DEP_1) | instskip(NEXT) | instid1(VALU_DEP_1)
	v_div_fmas_f32 v36, v36, v37, v39
	v_div_fixup_f32 v28, v36, 0x459c4000, v28
	v_div_scale_f32 v36, null, 0x459c4000, 0x459c4000, v27
	s_delay_alu instid0(VALU_DEP_1) | instskip(SKIP_1) | instid1(TRANS32_DEP_1)
	v_rcp_f32_e32 v37, v36
	v_nop
	v_fma_f32 v38, -v36, v37, 1.0
	s_delay_alu instid0(VALU_DEP_1) | instskip(SKIP_1) | instid1(VALU_DEP_1)
	v_fmac_f32_e32 v37, v38, v37
	v_div_scale_f32 v38, vcc_lo, v27, 0x459c4000, v27
	v_mul_f32_e32 v39, v38, v37
	s_delay_alu instid0(VALU_DEP_1) | instskip(NEXT) | instid1(VALU_DEP_1)
	v_fma_f32 v48, -v36, v39, v38
	v_fmac_f32_e32 v39, v48, v37
	s_delay_alu instid0(VALU_DEP_1) | instskip(NEXT) | instid1(VALU_DEP_1)
	v_fma_f32 v36, -v36, v39, v38
	v_div_fmas_f32 v36, v36, v37, v39
	s_delay_alu instid0(VALU_DEP_1) | instskip(SKIP_1) | instid1(VALU_DEP_1)
	v_div_fixup_f32 v27, v36, 0x459c4000, v27
	v_div_scale_f32 v36, null, 0x459c4000, 0x459c4000, v26
	v_rcp_f32_e32 v37, v36
	v_nop
	s_delay_alu instid0(TRANS32_DEP_1) | instskip(NEXT) | instid1(VALU_DEP_1)
	v_fma_f32 v38, -v36, v37, 1.0
	v_fmac_f32_e32 v37, v38, v37
	v_div_scale_f32 v38, vcc_lo, v26, 0x459c4000, v26
	s_delay_alu instid0(VALU_DEP_1) | instskip(NEXT) | instid1(VALU_DEP_1)
	v_mul_f32_e32 v39, v38, v37
	v_fma_f32 v48, -v36, v39, v38
	s_delay_alu instid0(VALU_DEP_1) | instskip(NEXT) | instid1(VALU_DEP_1)
	v_fmac_f32_e32 v39, v48, v37
	v_fma_f32 v36, -v36, v39, v38
	s_delay_alu instid0(VALU_DEP_1) | instskip(NEXT) | instid1(VALU_DEP_1)
	v_div_fmas_f32 v36, v36, v37, v39
	v_div_fixup_f32 v26, v36, 0x459c4000, v26
	v_div_scale_f32 v36, null, 0x459c4000, 0x459c4000, v25
	s_delay_alu instid0(VALU_DEP_1) | instskip(SKIP_1) | instid1(TRANS32_DEP_1)
	v_rcp_f32_e32 v37, v36
	v_nop
	v_fma_f32 v38, -v36, v37, 1.0
	s_delay_alu instid0(VALU_DEP_1) | instskip(SKIP_1) | instid1(VALU_DEP_1)
	v_fmac_f32_e32 v37, v38, v37
	v_div_scale_f32 v38, vcc_lo, v25, 0x459c4000, v25
	v_mul_f32_e32 v39, v38, v37
	s_delay_alu instid0(VALU_DEP_1) | instskip(NEXT) | instid1(VALU_DEP_1)
	v_fma_f32 v48, -v36, v39, v38
	v_fmac_f32_e32 v39, v48, v37
	s_delay_alu instid0(VALU_DEP_1) | instskip(NEXT) | instid1(VALU_DEP_1)
	v_fma_f32 v36, -v36, v39, v38
	v_div_fmas_f32 v36, v36, v37, v39
	s_delay_alu instid0(VALU_DEP_1) | instskip(SKIP_1) | instid1(VALU_DEP_1)
	v_div_fixup_f32 v25, v36, 0x459c4000, v25
	v_div_scale_f32 v36, null, 0x459c4000, 0x459c4000, v24
	v_rcp_f32_e32 v37, v36
	v_nop
	s_delay_alu instid0(TRANS32_DEP_1) | instskip(NEXT) | instid1(VALU_DEP_1)
	v_fma_f32 v38, -v36, v37, 1.0
	v_fmac_f32_e32 v37, v38, v37
	v_div_scale_f32 v38, vcc_lo, v24, 0x459c4000, v24
	s_delay_alu instid0(VALU_DEP_1) | instskip(NEXT) | instid1(VALU_DEP_1)
	v_mul_f32_e32 v39, v38, v37
	v_fma_f32 v48, -v36, v39, v38
	s_delay_alu instid0(VALU_DEP_1) | instskip(NEXT) | instid1(VALU_DEP_1)
	v_fmac_f32_e32 v39, v48, v37
	v_fma_f32 v36, -v36, v39, v38
	s_delay_alu instid0(VALU_DEP_1) | instskip(NEXT) | instid1(VALU_DEP_1)
	v_div_fmas_f32 v36, v36, v37, v39
	v_div_fixup_f32 v24, v36, 0x459c4000, v24
	v_div_scale_f32 v36, null, 0x459c4000, 0x459c4000, v23
	s_delay_alu instid0(VALU_DEP_1) | instskip(SKIP_1) | instid1(TRANS32_DEP_1)
	v_rcp_f32_e32 v37, v36
	v_nop
	v_fma_f32 v38, -v36, v37, 1.0
	s_delay_alu instid0(VALU_DEP_1) | instskip(SKIP_1) | instid1(VALU_DEP_1)
	v_fmac_f32_e32 v37, v38, v37
	v_div_scale_f32 v38, vcc_lo, v23, 0x459c4000, v23
	v_mul_f32_e32 v39, v38, v37
	s_delay_alu instid0(VALU_DEP_1) | instskip(NEXT) | instid1(VALU_DEP_1)
	v_fma_f32 v48, -v36, v39, v38
	v_fmac_f32_e32 v39, v48, v37
	s_delay_alu instid0(VALU_DEP_1) | instskip(NEXT) | instid1(VALU_DEP_1)
	v_fma_f32 v36, -v36, v39, v38
	v_div_fmas_f32 v36, v36, v37, v39
	s_delay_alu instid0(VALU_DEP_1) | instskip(SKIP_1) | instid1(VALU_DEP_1)
	v_div_fixup_f32 v23, v36, 0x459c4000, v23
	v_div_scale_f32 v36, null, 0x459c4000, 0x459c4000, v22
	v_rcp_f32_e32 v37, v36
	v_nop
	s_delay_alu instid0(TRANS32_DEP_1) | instskip(NEXT) | instid1(VALU_DEP_1)
	v_fma_f32 v38, -v36, v37, 1.0
	v_fmac_f32_e32 v37, v38, v37
	v_div_scale_f32 v38, vcc_lo, v22, 0x459c4000, v22
	s_delay_alu instid0(VALU_DEP_1) | instskip(NEXT) | instid1(VALU_DEP_1)
	v_mul_f32_e32 v39, v38, v37
	v_fma_f32 v48, -v36, v39, v38
	s_delay_alu instid0(VALU_DEP_1) | instskip(NEXT) | instid1(VALU_DEP_1)
	v_fmac_f32_e32 v39, v48, v37
	v_fma_f32 v36, -v36, v39, v38
	s_delay_alu instid0(VALU_DEP_1) | instskip(NEXT) | instid1(VALU_DEP_1)
	v_div_fmas_f32 v36, v36, v37, v39
	v_div_fixup_f32 v22, v36, 0x459c4000, v22
	v_div_scale_f32 v36, null, 0x459c4000, 0x459c4000, v21
	s_delay_alu instid0(VALU_DEP_1) | instskip(SKIP_1) | instid1(TRANS32_DEP_1)
	v_rcp_f32_e32 v37, v36
	v_nop
	v_fma_f32 v38, -v36, v37, 1.0
	s_delay_alu instid0(VALU_DEP_1) | instskip(SKIP_1) | instid1(VALU_DEP_1)
	v_fmac_f32_e32 v37, v38, v37
	v_div_scale_f32 v38, vcc_lo, v21, 0x459c4000, v21
	v_mul_f32_e32 v39, v38, v37
	s_delay_alu instid0(VALU_DEP_1) | instskip(NEXT) | instid1(VALU_DEP_1)
	v_fma_f32 v48, -v36, v39, v38
	v_fmac_f32_e32 v39, v48, v37
	s_delay_alu instid0(VALU_DEP_1) | instskip(NEXT) | instid1(VALU_DEP_1)
	v_fma_f32 v36, -v36, v39, v38
	v_div_fmas_f32 v36, v36, v37, v39
	s_delay_alu instid0(VALU_DEP_1) | instskip(SKIP_1) | instid1(VALU_DEP_1)
	v_div_fixup_f32 v21, v36, 0x459c4000, v21
	v_div_scale_f32 v36, null, 0x459c4000, 0x459c4000, v20
	v_rcp_f32_e32 v37, v36
	v_nop
	s_delay_alu instid0(TRANS32_DEP_1) | instskip(NEXT) | instid1(VALU_DEP_1)
	v_fma_f32 v38, -v36, v37, 1.0
	v_fmac_f32_e32 v37, v38, v37
	v_div_scale_f32 v38, vcc_lo, v20, 0x459c4000, v20
	s_delay_alu instid0(VALU_DEP_1) | instskip(NEXT) | instid1(VALU_DEP_1)
	v_mul_f32_e32 v39, v38, v37
	v_fma_f32 v48, -v36, v39, v38
	s_delay_alu instid0(VALU_DEP_1) | instskip(NEXT) | instid1(VALU_DEP_1)
	v_fmac_f32_e32 v39, v48, v37
	v_fma_f32 v36, -v36, v39, v38
	s_delay_alu instid0(VALU_DEP_1) | instskip(NEXT) | instid1(VALU_DEP_1)
	v_div_fmas_f32 v36, v36, v37, v39
	v_div_fixup_f32 v20, v36, 0x459c4000, v20
	v_div_scale_f32 v36, null, 0x459c4000, 0x459c4000, v19
	s_delay_alu instid0(VALU_DEP_1) | instskip(SKIP_1) | instid1(TRANS32_DEP_1)
	v_rcp_f32_e32 v37, v36
	v_nop
	v_fma_f32 v38, -v36, v37, 1.0
	s_delay_alu instid0(VALU_DEP_1) | instskip(SKIP_1) | instid1(VALU_DEP_1)
	v_fmac_f32_e32 v37, v38, v37
	v_div_scale_f32 v38, vcc_lo, v19, 0x459c4000, v19
	v_mul_f32_e32 v39, v38, v37
	s_delay_alu instid0(VALU_DEP_1) | instskip(NEXT) | instid1(VALU_DEP_1)
	v_fma_f32 v48, -v36, v39, v38
	v_fmac_f32_e32 v39, v48, v37
	s_delay_alu instid0(VALU_DEP_1) | instskip(NEXT) | instid1(VALU_DEP_1)
	v_fma_f32 v36, -v36, v39, v38
	v_div_fmas_f32 v36, v36, v37, v39
	s_delay_alu instid0(VALU_DEP_1) | instskip(SKIP_1) | instid1(VALU_DEP_1)
	v_div_fixup_f32 v19, v36, 0x459c4000, v19
	v_div_scale_f32 v36, null, 0x459c4000, 0x459c4000, v18
	v_rcp_f32_e32 v37, v36
	v_nop
	s_delay_alu instid0(TRANS32_DEP_1) | instskip(NEXT) | instid1(VALU_DEP_1)
	v_fma_f32 v38, -v36, v37, 1.0
	v_fmac_f32_e32 v37, v38, v37
	v_div_scale_f32 v38, vcc_lo, v18, 0x459c4000, v18
	s_delay_alu instid0(VALU_DEP_1) | instskip(NEXT) | instid1(VALU_DEP_1)
	v_mul_f32_e32 v39, v38, v37
	v_fma_f32 v48, -v36, v39, v38
	s_delay_alu instid0(VALU_DEP_1) | instskip(NEXT) | instid1(VALU_DEP_1)
	v_fmac_f32_e32 v39, v48, v37
	v_fma_f32 v36, -v36, v39, v38
	s_delay_alu instid0(VALU_DEP_1) | instskip(NEXT) | instid1(VALU_DEP_1)
	v_div_fmas_f32 v36, v36, v37, v39
	v_div_fixup_f32 v18, v36, 0x459c4000, v18
	v_div_scale_f32 v36, null, 0x459c4000, 0x459c4000, v17
	s_delay_alu instid0(VALU_DEP_1) | instskip(SKIP_1) | instid1(TRANS32_DEP_1)
	v_rcp_f32_e32 v37, v36
	v_nop
	v_fma_f32 v38, -v36, v37, 1.0
	s_delay_alu instid0(VALU_DEP_1) | instskip(SKIP_1) | instid1(VALU_DEP_1)
	v_fmac_f32_e32 v37, v38, v37
	v_div_scale_f32 v38, vcc_lo, v17, 0x459c4000, v17
	v_mul_f32_e32 v39, v38, v37
	s_delay_alu instid0(VALU_DEP_1) | instskip(NEXT) | instid1(VALU_DEP_1)
	v_fma_f32 v48, -v36, v39, v38
	v_fmac_f32_e32 v39, v48, v37
	s_delay_alu instid0(VALU_DEP_1) | instskip(NEXT) | instid1(VALU_DEP_1)
	v_fma_f32 v36, -v36, v39, v38
	v_div_fmas_f32 v36, v36, v37, v39
	s_delay_alu instid0(VALU_DEP_1) | instskip(SKIP_1) | instid1(VALU_DEP_1)
	v_div_fixup_f32 v17, v36, 0x459c4000, v17
	v_div_scale_f32 v36, null, 0x459c4000, 0x459c4000, v16
	v_rcp_f32_e32 v37, v36
	v_nop
	s_delay_alu instid0(TRANS32_DEP_1) | instskip(NEXT) | instid1(VALU_DEP_1)
	v_fma_f32 v38, -v36, v37, 1.0
	v_fmac_f32_e32 v37, v38, v37
	v_div_scale_f32 v38, vcc_lo, v16, 0x459c4000, v16
	s_delay_alu instid0(VALU_DEP_1) | instskip(NEXT) | instid1(VALU_DEP_1)
	v_mul_f32_e32 v39, v38, v37
	v_fma_f32 v48, -v36, v39, v38
	s_delay_alu instid0(VALU_DEP_1) | instskip(NEXT) | instid1(VALU_DEP_1)
	v_fmac_f32_e32 v39, v48, v37
	v_fma_f32 v36, -v36, v39, v38
	s_delay_alu instid0(VALU_DEP_1) | instskip(NEXT) | instid1(VALU_DEP_1)
	v_div_fmas_f32 v36, v36, v37, v39
	v_div_fixup_f32 v16, v36, 0x459c4000, v16
	v_div_scale_f32 v36, null, 0x459c4000, 0x459c4000, v15
	s_delay_alu instid0(VALU_DEP_1) | instskip(SKIP_1) | instid1(TRANS32_DEP_1)
	v_rcp_f32_e32 v37, v36
	v_nop
	v_fma_f32 v38, -v36, v37, 1.0
	s_delay_alu instid0(VALU_DEP_1) | instskip(SKIP_1) | instid1(VALU_DEP_1)
	v_fmac_f32_e32 v37, v38, v37
	v_div_scale_f32 v38, vcc_lo, v15, 0x459c4000, v15
	v_mul_f32_e32 v39, v38, v37
	s_delay_alu instid0(VALU_DEP_1) | instskip(NEXT) | instid1(VALU_DEP_1)
	v_fma_f32 v48, -v36, v39, v38
	v_fmac_f32_e32 v39, v48, v37
	s_delay_alu instid0(VALU_DEP_1) | instskip(NEXT) | instid1(VALU_DEP_1)
	v_fma_f32 v36, -v36, v39, v38
	v_div_fmas_f32 v36, v36, v37, v39
	s_delay_alu instid0(VALU_DEP_1) | instskip(SKIP_1) | instid1(VALU_DEP_1)
	v_div_fixup_f32 v15, v36, 0x459c4000, v15
	v_div_scale_f32 v36, null, 0x459c4000, 0x459c4000, v14
	v_rcp_f32_e32 v37, v36
	v_nop
	s_delay_alu instid0(TRANS32_DEP_1) | instskip(NEXT) | instid1(VALU_DEP_1)
	v_fma_f32 v38, -v36, v37, 1.0
	v_fmac_f32_e32 v37, v38, v37
	v_div_scale_f32 v38, vcc_lo, v14, 0x459c4000, v14
	s_delay_alu instid0(VALU_DEP_1) | instskip(NEXT) | instid1(VALU_DEP_1)
	v_mul_f32_e32 v39, v38, v37
	v_fma_f32 v48, -v36, v39, v38
	s_delay_alu instid0(VALU_DEP_1) | instskip(NEXT) | instid1(VALU_DEP_1)
	v_fmac_f32_e32 v39, v48, v37
	v_fma_f32 v36, -v36, v39, v38
	s_delay_alu instid0(VALU_DEP_1) | instskip(NEXT) | instid1(VALU_DEP_1)
	v_div_fmas_f32 v36, v36, v37, v39
	v_div_fixup_f32 v14, v36, 0x459c4000, v14
	v_div_scale_f32 v36, null, 0x459c4000, 0x459c4000, v13
	s_delay_alu instid0(VALU_DEP_1) | instskip(SKIP_1) | instid1(TRANS32_DEP_1)
	v_rcp_f32_e32 v37, v36
	v_nop
	v_fma_f32 v38, -v36, v37, 1.0
	s_delay_alu instid0(VALU_DEP_1) | instskip(SKIP_1) | instid1(VALU_DEP_1)
	v_fmac_f32_e32 v37, v38, v37
	v_div_scale_f32 v38, vcc_lo, v13, 0x459c4000, v13
	v_mul_f32_e32 v39, v38, v37
	s_delay_alu instid0(VALU_DEP_1) | instskip(NEXT) | instid1(VALU_DEP_1)
	v_fma_f32 v48, -v36, v39, v38
	v_fmac_f32_e32 v39, v48, v37
	s_delay_alu instid0(VALU_DEP_1) | instskip(NEXT) | instid1(VALU_DEP_1)
	v_fma_f32 v36, -v36, v39, v38
	v_div_fmas_f32 v36, v36, v37, v39
	s_delay_alu instid0(VALU_DEP_1) | instskip(SKIP_1) | instid1(VALU_DEP_1)
	v_div_fixup_f32 v13, v36, 0x459c4000, v13
	v_div_scale_f32 v36, null, 0x459c4000, 0x459c4000, v12
	v_rcp_f32_e32 v37, v36
	v_nop
	s_delay_alu instid0(TRANS32_DEP_1) | instskip(NEXT) | instid1(VALU_DEP_1)
	v_fma_f32 v38, -v36, v37, 1.0
	v_fmac_f32_e32 v37, v38, v37
	v_div_scale_f32 v38, vcc_lo, v12, 0x459c4000, v12
	s_delay_alu instid0(VALU_DEP_1) | instskip(NEXT) | instid1(VALU_DEP_1)
	v_mul_f32_e32 v39, v38, v37
	v_fma_f32 v48, -v36, v39, v38
	s_delay_alu instid0(VALU_DEP_1) | instskip(NEXT) | instid1(VALU_DEP_1)
	v_fmac_f32_e32 v39, v48, v37
	v_fma_f32 v36, -v36, v39, v38
	s_delay_alu instid0(VALU_DEP_1) | instskip(NEXT) | instid1(VALU_DEP_1)
	v_div_fmas_f32 v36, v36, v37, v39
	v_div_fixup_f32 v12, v36, 0x459c4000, v12
	v_div_scale_f32 v36, null, 0x459c4000, 0x459c4000, v11
	s_delay_alu instid0(VALU_DEP_1) | instskip(SKIP_1) | instid1(TRANS32_DEP_1)
	v_rcp_f32_e32 v37, v36
	v_nop
	v_fma_f32 v38, -v36, v37, 1.0
	s_delay_alu instid0(VALU_DEP_1) | instskip(SKIP_1) | instid1(VALU_DEP_1)
	v_fmac_f32_e32 v37, v38, v37
	v_div_scale_f32 v38, vcc_lo, v11, 0x459c4000, v11
	v_mul_f32_e32 v39, v38, v37
	s_delay_alu instid0(VALU_DEP_1) | instskip(NEXT) | instid1(VALU_DEP_1)
	v_fma_f32 v48, -v36, v39, v38
	v_fmac_f32_e32 v39, v48, v37
	s_delay_alu instid0(VALU_DEP_1) | instskip(NEXT) | instid1(VALU_DEP_1)
	v_fma_f32 v36, -v36, v39, v38
	v_div_fmas_f32 v36, v36, v37, v39
	s_delay_alu instid0(VALU_DEP_1) | instskip(SKIP_1) | instid1(VALU_DEP_1)
	v_div_fixup_f32 v11, v36, 0x459c4000, v11
	v_div_scale_f32 v36, null, 0x459c4000, 0x459c4000, v10
	v_rcp_f32_e32 v37, v36
	v_nop
	s_delay_alu instid0(TRANS32_DEP_1) | instskip(NEXT) | instid1(VALU_DEP_1)
	v_fma_f32 v38, -v36, v37, 1.0
	v_fmac_f32_e32 v37, v38, v37
	v_div_scale_f32 v38, vcc_lo, v10, 0x459c4000, v10
	s_delay_alu instid0(VALU_DEP_1) | instskip(NEXT) | instid1(VALU_DEP_1)
	v_mul_f32_e32 v39, v38, v37
	v_fma_f32 v48, -v36, v39, v38
	s_delay_alu instid0(VALU_DEP_1) | instskip(NEXT) | instid1(VALU_DEP_1)
	v_fmac_f32_e32 v39, v48, v37
	v_fma_f32 v36, -v36, v39, v38
	s_delay_alu instid0(VALU_DEP_1) | instskip(NEXT) | instid1(VALU_DEP_1)
	v_div_fmas_f32 v36, v36, v37, v39
	v_div_fixup_f32 v10, v36, 0x459c4000, v10
	v_div_scale_f32 v36, null, 0x459c4000, 0x459c4000, v9
	s_delay_alu instid0(VALU_DEP_1) | instskip(SKIP_1) | instid1(TRANS32_DEP_1)
	v_rcp_f32_e32 v37, v36
	v_nop
	v_fma_f32 v38, -v36, v37, 1.0
	s_delay_alu instid0(VALU_DEP_1) | instskip(SKIP_1) | instid1(VALU_DEP_1)
	v_fmac_f32_e32 v37, v38, v37
	v_div_scale_f32 v38, vcc_lo, v9, 0x459c4000, v9
	v_mul_f32_e32 v39, v38, v37
	s_delay_alu instid0(VALU_DEP_1) | instskip(NEXT) | instid1(VALU_DEP_1)
	v_fma_f32 v48, -v36, v39, v38
	v_fmac_f32_e32 v39, v48, v37
	s_delay_alu instid0(VALU_DEP_1) | instskip(NEXT) | instid1(VALU_DEP_1)
	v_fma_f32 v36, -v36, v39, v38
	v_div_fmas_f32 v36, v36, v37, v39
	s_delay_alu instid0(VALU_DEP_1) | instskip(SKIP_1) | instid1(VALU_DEP_1)
	v_div_fixup_f32 v9, v36, 0x459c4000, v9
	v_div_scale_f32 v36, null, 0x459c4000, 0x459c4000, v8
	v_rcp_f32_e32 v37, v36
	v_nop
	s_delay_alu instid0(TRANS32_DEP_1) | instskip(NEXT) | instid1(VALU_DEP_1)
	v_fma_f32 v38, -v36, v37, 1.0
	v_fmac_f32_e32 v37, v38, v37
	v_div_scale_f32 v38, vcc_lo, v8, 0x459c4000, v8
	s_delay_alu instid0(VALU_DEP_1) | instskip(NEXT) | instid1(VALU_DEP_1)
	v_mul_f32_e32 v39, v38, v37
	v_fma_f32 v48, -v36, v39, v38
	s_delay_alu instid0(VALU_DEP_1) | instskip(NEXT) | instid1(VALU_DEP_1)
	v_fmac_f32_e32 v39, v48, v37
	v_fma_f32 v36, -v36, v39, v38
	s_delay_alu instid0(VALU_DEP_1) | instskip(NEXT) | instid1(VALU_DEP_1)
	v_div_fmas_f32 v36, v36, v37, v39
	v_div_fixup_f32 v8, v36, 0x459c4000, v8
	v_div_scale_f32 v36, null, 0x459c4000, 0x459c4000, v0
	s_delay_alu instid0(VALU_DEP_2) | instskip(NEXT) | instid1(VALU_DEP_2)
	v_add_f32_e32 v8, v8, v9
	v_rcp_f32_e32 v37, v36
	s_delay_alu instid0(VALU_DEP_1) | instskip(NEXT) | instid1(TRANS32_DEP_1)
	v_add_f32_e32 v8, v8, v10
	v_fma_f32 v38, -v36, v37, 1.0
	s_delay_alu instid0(VALU_DEP_1) | instskip(SKIP_1) | instid1(VALU_DEP_1)
	v_dual_add_f32 v8, v8, v11 :: v_dual_fmac_f32 v37, v38, v37
	v_div_scale_f32 v38, vcc_lo, v0, 0x459c4000, v0
	v_dual_add_f32 v8, v8, v12 :: v_dual_mul_f32 v39, v38, v37
	s_delay_alu instid0(VALU_DEP_1) | instskip(NEXT) | instid1(VALU_DEP_2)
	v_add_f32_e32 v8, v8, v13
	v_fma_f32 v48, -v36, v39, v38
	s_delay_alu instid0(VALU_DEP_2) | instskip(NEXT) | instid1(VALU_DEP_1)
	v_add_f32_e32 v8, v8, v14
	v_add_f32_e32 v8, v8, v15
	s_delay_alu instid0(VALU_DEP_1) | instskip(NEXT) | instid1(VALU_DEP_1)
	v_add_f32_e32 v8, v8, v16
	v_add_f32_e32 v8, v8, v17
	s_delay_alu instid0(VALU_DEP_1) | instskip(NEXT) | instid1(VALU_DEP_1)
	v_add_f32_e32 v8, v8, v18
	v_add_f32_e32 v8, v8, v19
	s_delay_alu instid0(VALU_DEP_1) | instskip(NEXT) | instid1(VALU_DEP_1)
	v_add_f32_e32 v8, v8, v20
	v_add_f32_e32 v8, v8, v21
	s_delay_alu instid0(VALU_DEP_1) | instskip(NEXT) | instid1(VALU_DEP_1)
	v_add_f32_e32 v8, v8, v22
	v_add_f32_e32 v8, v8, v23
	s_delay_alu instid0(VALU_DEP_1) | instskip(NEXT) | instid1(VALU_DEP_1)
	v_add_f32_e32 v8, v8, v24
	v_add_f32_e32 v8, v8, v25
	s_delay_alu instid0(VALU_DEP_1) | instskip(NEXT) | instid1(VALU_DEP_1)
	v_add_f32_e32 v8, v8, v26
	v_add_f32_e32 v8, v8, v27
	s_delay_alu instid0(VALU_DEP_1) | instskip(NEXT) | instid1(VALU_DEP_1)
	v_add_f32_e32 v8, v8, v28
	v_add_f32_e32 v8, v8, v29
	s_delay_alu instid0(VALU_DEP_1) | instskip(NEXT) | instid1(VALU_DEP_1)
	v_add_f32_e32 v8, v8, v30
	v_add_f32_e32 v8, v8, v31
	s_delay_alu instid0(VALU_DEP_1) | instskip(NEXT) | instid1(VALU_DEP_1)
	v_add_f32_e32 v7, v8, v7
	v_dual_fmac_f32 v39, v48, v37 :: v_dual_add_f32 v6, v7, v6
	s_delay_alu instid0(VALU_DEP_1) | instskip(NEXT) | instid1(VALU_DEP_1)
	v_dual_fma_f32 v36, -v36, v39, v38 :: v_dual_add_f32 v5, v6, v5
	v_div_fmas_f32 v36, v36, v37, v39
	s_delay_alu instid0(VALU_DEP_2) | instskip(NEXT) | instid1(VALU_DEP_2)
	v_add_f32_e32 v4, v5, v4
	v_div_fixup_f32 v0, v36, 0x459c4000, v0
	s_delay_alu instid0(VALU_DEP_2) | instskip(NEXT) | instid1(VALU_DEP_1)
	v_add_f32_e32 v3, v4, v3
	v_add_f32_e32 v2, v3, v2
	s_delay_alu instid0(VALU_DEP_1) | instskip(NEXT) | instid1(VALU_DEP_1)
	v_add_f32_e32 v1, v2, v1
	v_add_f32_e32 v1, v1, v0
	v_mbcnt_lo_u32_b32 v0, -1, 0
	s_delay_alu instid0(VALU_DEP_2) | instskip(NEXT) | instid1(VALU_DEP_1)
	v_mov_b32_dpp v2, v1 quad_perm:[1,0,3,2] row_mask:0xf bank_mask:0xf
	v_add_f32_e32 v1, v1, v2
	s_delay_alu instid0(VALU_DEP_1) | instskip(NEXT) | instid1(VALU_DEP_1)
	v_mov_b32_dpp v2, v1 quad_perm:[2,3,0,1] row_mask:0xf bank_mask:0xf
	v_add_f32_e32 v1, v1, v2
	s_delay_alu instid0(VALU_DEP_1) | instskip(NEXT) | instid1(VALU_DEP_1)
	v_mov_b32_dpp v2, v1 row_ror:4 row_mask:0xf bank_mask:0xf
	v_add_f32_e32 v1, v1, v2
	s_delay_alu instid0(VALU_DEP_1) | instskip(NEXT) | instid1(VALU_DEP_1)
	v_mov_b32_dpp v2, v1 row_ror:8 row_mask:0xf bank_mask:0xf
	v_add_f32_e32 v1, v1, v2
	ds_swizzle_b32 v2, v1 offset:swizzle(BROADCAST,32,15)
	s_wait_dscnt 0x0
	v_dual_add_f32 v1, v1, v2 :: v_dual_mov_b32 v2, 0
	ds_bpermute_b32 v1, v2, v1 offset:124
	v_cmpx_eq_u32_e32 0, v0
	s_cbranch_execz .LBB27_592
; %bb.591:
	v_lshrrev_b32_e32 v2, 3, v50
	s_delay_alu instid0(VALU_DEP_1)
	v_and_b32_e32 v2, 0x7c, v2
	s_wait_dscnt 0x0
	ds_store_b32 v2, v1 offset:96
.LBB27_592:
	s_or_b32 exec_lo, exec_lo, s0
	s_delay_alu instid0(SALU_CYCLE_1)
	s_mov_b32 s0, exec_lo
	s_wait_storecnt 0x0
	s_wait_loadcnt_dscnt 0x0
	s_barrier_signal -1
	s_barrier_wait -1
	v_cmpx_gt_u32_e32 32, v50
	s_cbranch_execz .LBB27_594
; %bb.593:
	v_lshl_or_b32 v1, v0, 2, 0x60
	v_and_b32_e32 v2, 7, v0
	ds_load_b32 v1, v1
	v_cmp_ne_u32_e32 vcc_lo, 7, v2
	v_add_co_ci_u32_e64 v3, null, 0, v0, vcc_lo
	s_delay_alu instid0(VALU_DEP_1)
	v_lshlrev_b32_e32 v3, 2, v3
	v_cmp_gt_u32_e32 vcc_lo, 6, v2
	v_cndmask_b32_e64 v2, 0, 2, vcc_lo
	s_wait_dscnt 0x0
	ds_bpermute_b32 v3, v3, v1
	v_add_lshl_u32 v2, v2, v0, 2
	v_lshlrev_b32_e32 v0, 2, v0
	s_wait_dscnt 0x0
	s_delay_alu instid0(VALU_DEP_1)
	v_dual_add_f32 v1, v1, v3 :: v_dual_bitop2_b32 v0, 16, v0 bitop3:0x54
	ds_bpermute_b32 v2, v2, v1
	s_wait_dscnt 0x0
	v_add_f32_e32 v1, v1, v2
	ds_bpermute_b32 v0, v0, v1
	s_wait_dscnt 0x0
	v_add_f32_e32 v1, v1, v0
.LBB27_594:
	s_or_b32 exec_lo, exec_lo, s0
                                        ; implicit-def: $vgpr53
	s_and_not1_saveexec_b32 s63, s11
	s_cbranch_execz .LBB27_28
.LBB27_595:
	v_subrev_nc_u32_e32 v52, s10, v32
	v_mov_b32_e32 v0, 0
	s_delay_alu instid0(VALU_DEP_2) | instskip(NEXT) | instid1(VALU_DEP_2)
	v_cmp_lt_u32_e32 vcc_lo, v50, v52
	v_dual_mov_b32 v1, v0 :: v_dual_mov_b32 v2, v0
	v_dual_mov_b32 v3, v0 :: v_dual_mov_b32 v4, v0
	v_dual_mov_b32 v5, v0 :: v_dual_mov_b32 v6, v0
	v_dual_mov_b32 v7, v0 :: v_dual_mov_b32 v8, v0
	v_dual_mov_b32 v9, v0 :: v_dual_mov_b32 v10, v0
	v_dual_mov_b32 v11, v0 :: v_dual_mov_b32 v12, v0
	v_dual_mov_b32 v13, v0 :: v_dual_mov_b32 v14, v0
	v_dual_mov_b32 v15, v0 :: v_dual_mov_b32 v16, v0
	v_dual_mov_b32 v17, v0 :: v_dual_mov_b32 v18, v0
	v_dual_mov_b32 v19, v0 :: v_dual_mov_b32 v20, v0
	v_dual_mov_b32 v21, v0 :: v_dual_mov_b32 v22, v0
	v_dual_mov_b32 v23, v0 :: v_dual_mov_b32 v24, v0
	v_dual_mov_b32 v25, v0 :: v_dual_mov_b32 v26, v0
	v_dual_mov_b32 v27, v0 :: v_dual_mov_b32 v28, v0
	v_dual_mov_b32 v29, v0 :: v_dual_mov_b32 v30, v0
	v_mov_b32_e32 v31, v0
	s_and_saveexec_b32 s10, vcc_lo
	s_cbranch_execz .LBB27_654
; %bb.596:
	v_dual_mov_b32 v1, 1 :: v_dual_add_nc_u32 v0, v53, v50
	s_mov_b32 s11, exec_lo
	s_delay_alu instid0(VALU_DEP_1) | instskip(NEXT) | instid1(VALU_DEP_1)
	v_mul_lo_u32 v0, 0x1388, v0
	v_cmpx_ne_u32_e32 0, v0
	s_cbranch_execz .LBB27_651
; %bb.597:
	v_mov_b32_e32 v1, 0
	v_mov_b64_e32 v[4:5], 1
	s_mov_b64 s[8:9], 0xbc8f
	s_mov_b64 s[0:1], 0xfffffffd
	s_mov_b64 s[2:3], 0xffffffff
	v_mov_b64_e32 v[2:3], v[0:1]
	s_mov_b64 s[4:5], 0x80000001
	s_mov_b32 s7, 0
	s_mov_b32 s12, 0
	s_branch .LBB27_599
.LBB27_598:                             ;   in Loop: Header=BB27_599 Depth=1
	s_or_b32 exec_lo, exec_lo, s6
	s_mul_u64 s[8:9], s[8:9], s[8:9]
	s_mov_b32 s15, s7
	s_and_b64 s[16:17], s[8:9], s[0:1]
	s_mov_b32 s6, s9
	s_mul_u64 s[18:19], s[16:17], 3
	s_mul_u64 s[20:21], s[6:7], 3
	s_mov_b32 s14, s19
	s_mul_u64 s[16:17], s[16:17], s[4:5]
	s_add_nc_u64 s[14:15], s[20:21], s[14:15]
	v_lshrrev_b64 v[6:7], 1, v[2:3]
	s_and_b64 s[20:21], s[14:15], s[2:3]
	s_mov_b32 s19, s7
	s_add_nc_u64 s[16:17], s[16:17], s[20:21]
	s_mov_b32 s23, s7
	s_mov_b32 s18, s15
	;; [unrolled: 1-line block ×3, first 2 shown]
	s_mul_u64 s[16:17], s[6:7], s[4:5]
	s_add_nc_u64 s[14:15], s[18:19], s[22:23]
	v_cmp_gt_u64_e32 vcc_lo, 2, v[2:3]
	s_add_nc_u64 s[14:15], s[16:17], s[14:15]
	v_mov_b64_e32 v[2:3], v[6:7]
	s_lshr_b64 s[14:15], s[14:15], 30
	s_delay_alu instid0(SALU_CYCLE_1)
	s_mul_u64 s[14:15], s[14:15], 0x7fffffff
	s_or_b32 s12, vcc_lo, s12
	s_sub_nc_u64 s[8:9], s[8:9], s[14:15]
	s_and_not1_b32 exec_lo, exec_lo, s12
	s_cbranch_execz .LBB27_650
.LBB27_599:                             ; =>This Inner Loop Header: Depth=1
	s_delay_alu instid0(VALU_DEP_1) | instskip(SKIP_1) | instid1(VALU_DEP_1)
	v_and_b32_e32 v0, 1, v2
	s_mov_b32 s6, exec_lo
	v_cmpx_eq_u32_e32 1, v0
	s_cbranch_execz .LBB27_598
; %bb.600:                              ;   in Loop: Header=BB27_599 Depth=1
	v_mul_u64_e32 v[4:5], s[8:9], v[4:5]
	s_delay_alu instid0(VALU_DEP_1) | instskip(NEXT) | instid1(VALU_DEP_1)
	v_mov_b32_e32 v0, v4
	v_mul_u64_e32 v[6:7], 5, v[0:1]
	s_delay_alu instid0(VALU_DEP_1) | instskip(NEXT) | instid1(VALU_DEP_1)
	v_mov_b32_e32 v0, v7
	v_mad_nc_u64_u32 v[6:7], v5, 5, v[0:1]
	s_delay_alu instid0(VALU_DEP_1) | instskip(NEXT) | instid1(VALU_DEP_1)
	v_dual_mov_b32 v0, v7 :: v_dual_mov_b32 v7, v1
	v_mad_nc_u64_u32 v[6:7], v4, 2, v[6:7]
	s_delay_alu instid0(VALU_DEP_1) | instskip(NEXT) | instid1(VALU_DEP_1)
	v_dual_mov_b32 v6, v7 :: v_dual_mov_b32 v7, v1
	v_add_nc_u64_e32 v[6:7], v[0:1], v[6:7]
	s_delay_alu instid0(VALU_DEP_1) | instskip(NEXT) | instid1(VALU_DEP_1)
	v_mad_nc_u64_u32 v[6:7], v5, 2, v[6:7]
	v_sub_nc_u64_e32 v[8:9], v[4:5], v[6:7]
	s_delay_alu instid0(VALU_DEP_1) | instskip(NEXT) | instid1(VALU_DEP_1)
	v_lshrrev_b64 v[8:9], 1, v[8:9]
	v_add_nc_u64_e32 v[6:7], v[8:9], v[6:7]
	s_delay_alu instid0(VALU_DEP_1) | instskip(NEXT) | instid1(VALU_DEP_1)
	v_lshrrev_b64 v[6:7], 30, v[6:7]
	v_mul_u64_e32 v[6:7], 0x7fffffff, v[6:7]
	s_delay_alu instid0(VALU_DEP_1)
	v_sub_nc_u64_e32 v[4:5], v[4:5], v[6:7]
	s_branch .LBB27_598
.LBB27_601:
	s_or_b32 exec_lo, exec_lo, s16
	v_add_min_u32_e64 v6, 0x80000001, v10, v10
	s_delay_alu instid0(VALU_DEP_1)
	v_add_min_u32_e64 v7, 0x80000001, v6, v6
.LBB27_602:
	s_or_b32 exec_lo, exec_lo, s14
	v_mov_b32_e32 v6, 0
	s_movk_i32 s5, 0x1388
	s_brev_b32 s4, 12
.LBB27_603:                             ; =>This Inner Loop Header: Depth=1
	v_mul_hi_u32 v8, 0xbc8f1391, v7
	s_delay_alu instid0(VALU_DEP_1) | instskip(NEXT) | instid1(VALU_DEP_1)
	v_lshrrev_b32_e32 v8, 15, v8
	v_mul_u32_u24_e32 v9, 0xadc8, v8
	s_delay_alu instid0(VALU_DEP_1) | instskip(SKIP_1) | instid1(VALU_DEP_2)
	v_sub_nc_u32_e32 v7, v7, v9
	v_mul_u32_u24_e32 v8, 0xd47, v8
	v_mul_lo_u32 v7, 0xbc8f, v7
	s_delay_alu instid0(VALU_DEP_2) | instskip(SKIP_1) | instid1(VALU_DEP_3)
	v_xor_b32_e32 v9, 0x7fffffff, v8
	v_sub_nc_u32_e32 v10, 0, v8
	v_cmp_lt_u32_e32 vcc_lo, v7, v8
	s_delay_alu instid0(VALU_DEP_2) | instskip(NEXT) | instid1(VALU_DEP_1)
	v_cndmask_b32_e32 v8, v10, v9, vcc_lo
	v_add_nc_u32_e32 v7, v8, v7
	s_delay_alu instid0(VALU_DEP_1) | instskip(NEXT) | instid1(VALU_DEP_1)
	v_mul_hi_u32 v8, 0xbc8f1391, v7
	v_lshrrev_b32_e32 v8, 15, v8
	s_delay_alu instid0(VALU_DEP_1) | instskip(SKIP_1) | instid1(VALU_DEP_2)
	v_mul_u32_u24_e32 v9, 0xadc8, v8
	v_mul_u32_u24_e32 v8, 0xd47, v8
	v_sub_nc_u32_e32 v9, v7, v9
	s_delay_alu instid0(VALU_DEP_2) | instskip(SKIP_1) | instid1(VALU_DEP_3)
	v_xor_b32_e32 v10, 0x7fffffff, v8
	v_add_nc_u32_e32 v7, -1, v7
	v_mul_lo_u32 v9, 0xbc8f, v9
	v_sub_nc_u32_e32 v11, 0, v8
	s_delay_alu instid0(VALU_DEP_2) | instskip(NEXT) | instid1(VALU_DEP_2)
	v_cmp_lt_u32_e32 vcc_lo, v9, v8
	v_cndmask_b32_e32 v8, v11, v10, vcc_lo
	s_delay_alu instid0(VALU_DEP_1) | instskip(NEXT) | instid1(VALU_DEP_1)
	v_add_nc_u32_e32 v9, v8, v9
	v_mul_hi_u32 v8, 0xbc8f1391, v9
	s_delay_alu instid0(VALU_DEP_1) | instskip(NEXT) | instid1(VALU_DEP_1)
	v_lshrrev_b32_e32 v8, 15, v8
	v_mul_u32_u24_e32 v10, 0xadc8, v8
	v_mul_u32_u24_e32 v8, 0xd47, v8
	s_delay_alu instid0(VALU_DEP_2) | instskip(NEXT) | instid1(VALU_DEP_2)
	v_sub_nc_u32_e32 v10, v9, v10
	v_xor_b32_e32 v11, 0x7fffffff, v8
	v_add_nc_u32_e32 v9, -1, v9
	s_delay_alu instid0(VALU_DEP_3) | instskip(SKIP_1) | instid1(VALU_DEP_3)
	v_mul_lo_u32 v10, 0xbc8f, v10
	v_sub_nc_u32_e32 v14, 0, v8
	v_cvt_f32_u32_e32 v9, v9
	s_delay_alu instid0(VALU_DEP_3) | instskip(NEXT) | instid1(VALU_DEP_3)
	v_cmp_lt_u32_e32 vcc_lo, v10, v8
	v_dual_cndmask_b32 v8, v14, v11, vcc_lo :: v_dual_add_f32 v14, 1.0, v6
	s_delay_alu instid0(VALU_DEP_1) | instskip(NEXT) | instid1(VALU_DEP_1)
	v_add_nc_u32_e32 v10, v8, v10
	v_mul_hi_u32 v8, 0xbc8f1391, v10
	s_delay_alu instid0(VALU_DEP_1) | instskip(NEXT) | instid1(VALU_DEP_1)
	v_lshrrev_b32_e32 v8, 15, v8
	v_mul_u32_u24_e32 v11, 0xadc8, v8
	v_mul_u32_u24_e32 v15, 0xd47, v8
	v_cvt_f32_u32_e32 v8, v7
	s_delay_alu instid0(VALU_DEP_3) | instskip(NEXT) | instid1(VALU_DEP_3)
	v_sub_nc_u32_e32 v11, v10, v11
	v_xor_b32_e32 v7, 0x7fffffff, v15
	s_delay_alu instid0(VALU_DEP_3) | instskip(SKIP_1) | instid1(VALU_DEP_4)
	v_pk_fma_f32 v[8:9], v[8:9], s[4:5], 0 op_sel_hi:[1,0,0]
	v_dual_sub_nc_u32 v16, 0, v15 :: v_dual_add_nc_u32 v10, -1, v10
	v_mul_lo_u32 v11, 0xbc8f, v11
	s_delay_alu instid0(VALU_DEP_3) | instskip(NEXT) | instid1(VALU_DEP_3)
	v_pk_mul_f32 v[8:9], v[8:9], v[8:9]
	v_cvt_f32_u32_e32 v10, v10
	s_delay_alu instid0(VALU_DEP_3) | instskip(NEXT) | instid1(VALU_DEP_3)
	v_cmp_lt_u32_e32 vcc_lo, v11, v15
	v_add_f32_e32 v15, v8, v9
	v_cndmask_b32_e32 v7, v16, v7, vcc_lo
	s_delay_alu instid0(VALU_DEP_1) | instskip(NEXT) | instid1(VALU_DEP_1)
	v_add_nc_u32_e32 v7, v7, v11
	v_add_nc_u32_e32 v11, -1, v7
	s_delay_alu instid0(VALU_DEP_1) | instskip(NEXT) | instid1(VALU_DEP_1)
	v_cvt_f32_u32_e32 v11, v11
	v_pk_fma_f32 v[8:9], v[10:11], s[4:5], 0 op_sel_hi:[1,0,0]
	s_add_co_i32 s5, s5, -2
	s_delay_alu instid0(SALU_CYCLE_1) | instskip(NEXT) | instid1(VALU_DEP_1)
	s_cmp_lg_u32 s5, 0
	v_pk_mul_f32 v[8:9], v[8:9], v[8:9]
	s_delay_alu instid0(VALU_DEP_1) | instskip(NEXT) | instid1(VALU_DEP_1)
	v_add_f32_e32 v8, v8, v9
	v_mul_f32_e32 v11, 0x4f800000, v8
	v_cmp_gt_f32_e64 s0, 0xf800000, v8
	s_delay_alu instid0(VALU_DEP_1) | instskip(SKIP_2) | instid1(VALU_DEP_3)
	v_cndmask_b32_e64 v8, v8, v11, s0
	v_mul_f32_e32 v10, 0x4f800000, v15
	v_cmp_gt_f32_e32 vcc_lo, 0xf800000, v15
	v_sqrt_f32_e32 v17, v8
	s_delay_alu instid0(VALU_DEP_2) | instskip(NEXT) | instid1(VALU_DEP_1)
	v_cndmask_b32_e32 v10, v15, v10, vcc_lo
	v_sqrt_f32_e32 v9, v10
	v_nop
	s_delay_alu instid0(TRANS32_DEP_1) | instskip(NEXT) | instid1(VALU_DEP_1)
	v_dual_add_nc_u32 v15, -1, v9 :: v_dual_add_nc_u32 v11, 1, v9
	v_fma_f32 v16, -v15, v9, v10
	s_delay_alu instid0(VALU_DEP_2) | instskip(NEXT) | instid1(VALU_DEP_2)
	v_fma_f32 v18, -v11, v9, v10
	v_cmp_ge_f32_e64 s1, 0, v16
	s_delay_alu instid0(VALU_DEP_1) | instskip(NEXT) | instid1(VALU_DEP_3)
	v_cndmask_b32_e64 v9, v9, v15, s1
	v_cmp_lt_f32_e64 s1, 0, v18
	s_delay_alu instid0(VALU_DEP_1) | instskip(NEXT) | instid1(VALU_DEP_1)
	v_dual_add_nc_u32 v15, -1, v17 :: v_dual_cndmask_b32 v9, v9, v11, s1
	v_dual_add_nc_u32 v11, 1, v17 :: v_dual_fma_f32 v16, -v15, v17, v8
	s_delay_alu instid0(VALU_DEP_2) | instskip(NEXT) | instid1(VALU_DEP_2)
	v_mul_f32_e32 v18, 0x37800000, v9
	v_fma_f32 v19, -v11, v17, v8
	s_delay_alu instid0(VALU_DEP_3) | instskip(NEXT) | instid1(VALU_DEP_3)
	v_cmp_ge_f32_e64 s1, 0, v16
	v_cndmask_b32_e32 v9, v9, v18, vcc_lo
	v_cmp_class_f32_e64 vcc_lo, v10, 0x260
	s_delay_alu instid0(VALU_DEP_3) | instskip(SKIP_1) | instid1(VALU_DEP_4)
	v_cndmask_b32_e64 v15, v17, v15, s1
	v_cmp_lt_f32_e64 s1, 0, v19
	v_cndmask_b32_e32 v9, v9, v10, vcc_lo
	s_delay_alu instid0(VALU_DEP_1) | instskip(NEXT) | instid1(VALU_DEP_3)
	v_cmp_nge_f32_e32 vcc_lo, 1.0, v9
	v_dual_cndmask_b32 v6, v14, v6, vcc_lo :: v_dual_cndmask_b32 v11, v15, v11, s1
	v_cmp_class_f32_e64 vcc_lo, v8, 0x260
	s_delay_alu instid0(VALU_DEP_2) | instskip(NEXT) | instid1(VALU_DEP_1)
	v_mul_f32_e32 v10, 0x37800000, v11
	v_cndmask_b32_e64 v9, v11, v10, s0
	s_delay_alu instid0(VALU_DEP_1) | instskip(NEXT) | instid1(VALU_DEP_1)
	v_dual_add_f32 v10, 1.0, v6 :: v_dual_cndmask_b32 v8, v9, v8, vcc_lo
	v_cmp_nge_f32_e32 vcc_lo, 1.0, v8
	s_delay_alu instid0(VALU_DEP_2)
	v_cndmask_b32_e32 v6, v10, v6, vcc_lo
	s_cbranch_scc1 .LBB27_603
; %bb.604:
	s_delay_alu instid0(VALU_DEP_1) | instskip(NEXT) | instid1(VALU_DEP_1)
	v_mul_f32_e32 v6, 4.0, v6
	v_div_scale_f32 v7, null, 0x459c4000, 0x459c4000, v6
	s_delay_alu instid0(VALU_DEP_1) | instskip(SKIP_1) | instid1(TRANS32_DEP_1)
	v_rcp_f32_e32 v8, v7
	v_nop
	v_fma_f32 v9, -v7, v8, 1.0
	s_delay_alu instid0(VALU_DEP_1) | instskip(SKIP_1) | instid1(VALU_DEP_1)
	v_fmac_f32_e32 v8, v9, v8
	v_div_scale_f32 v9, vcc_lo, v6, 0x459c4000, v6
	v_mul_f32_e32 v10, v9, v8
	s_delay_alu instid0(VALU_DEP_1) | instskip(NEXT) | instid1(VALU_DEP_1)
	v_fma_f32 v11, -v7, v10, v9
	v_fmac_f32_e32 v10, v11, v8
	s_delay_alu instid0(VALU_DEP_1) | instskip(NEXT) | instid1(VALU_DEP_1)
	v_fma_f32 v7, -v7, v10, v9
	v_div_fmas_f32 v7, v7, v8, v10
	s_delay_alu instid0(VALU_DEP_1)
	v_div_fixup_f32 v7, v7, 0x459c4000, v6
.LBB27_605:
	s_or_b32 exec_lo, exec_lo, s15
	s_wait_loadcnt_dscnt 0x202
	v_mbcnt_lo_u32_b32 v6, -1, 0
	v_and_b32_e32 v10, 0x3e0, v50
	s_delay_alu instid0(VALU_DEP_2) | instskip(SKIP_4) | instid1(VALU_DEP_2)
	v_cmp_ne_u32_e32 vcc_lo, 31, v6
	v_cmp_gt_u32_e64 s0, 28, v6
	v_add_nc_u32_e32 v14, 2, v6
	v_add_co_ci_u32_e64 v8, null, 0, v6, vcc_lo
	v_cmp_gt_u32_e32 vcc_lo, 30, v6
	v_lshlrev_b32_e32 v8, 2, v8
	v_cndmask_b32_e64 v11, 0, 2, vcc_lo
	ds_bpermute_b32 v9, v8, v7
	v_min_u32_e32 v8, 0x100, v13
	v_add_nc_u32_e32 v13, 1, v6
	v_add_lshl_u32 v11, v11, v6, 2
	s_delay_alu instid0(VALU_DEP_3) | instskip(NEXT) | instid1(VALU_DEP_1)
	v_sub_nc_u32_e64 v10, v8, v10 clamp
	v_cmp_lt_u32_e32 vcc_lo, v13, v10
	v_cndmask_b32_e64 v13, 0, 4, s0
	v_cmp_lt_u32_e64 s0, v14, v10
	v_add_nc_u32_e32 v14, 4, v6
	s_delay_alu instid0(VALU_DEP_3) | instskip(SKIP_2) | instid1(VALU_DEP_1)
	v_add_lshl_u32 v13, v13, v6, 2
	s_wait_dscnt 0x0
	v_add_f32_e32 v9, v7, v9
	v_cndmask_b32_e32 v9, v7, v9, vcc_lo
	ds_bpermute_b32 v11, v11, v9
	s_wait_dscnt 0x0
	v_add_f32_e32 v11, v9, v11
	s_delay_alu instid0(VALU_DEP_1)
	v_cndmask_b32_e64 v9, v9, v11, s0
	v_cmp_gt_u32_e64 s0, 24, v6
	ds_bpermute_b32 v11, v13, v9
	v_cndmask_b32_e64 v13, 0, 8, s0
	v_cmp_lt_u32_e64 s0, v14, v10
	v_add_nc_u32_e32 v14, 8, v6
	s_delay_alu instid0(VALU_DEP_3) | instskip(SKIP_2) | instid1(VALU_DEP_1)
	v_add_lshl_u32 v13, v13, v6, 2
	s_wait_dscnt 0x0
	v_add_f32_e32 v11, v9, v11
	v_cndmask_b32_e64 v11, v9, v11, s0
	v_cmp_lt_u32_e64 s0, v14, v10
	v_dual_add_nc_u32 v14, 16, v6 :: v_dual_lshlrev_b32 v9, 2, v6
	ds_bpermute_b32 v13, v13, v11
	v_or_b32_e32 v15, 64, v9
	s_wait_dscnt 0x0
	v_add_f32_e32 v13, v11, v13
	s_delay_alu instid0(VALU_DEP_1) | instskip(SKIP_4) | instid1(VALU_DEP_1)
	v_cndmask_b32_e64 v11, v11, v13, s0
	v_cmp_lt_u32_e64 s0, v14, v10
	ds_bpermute_b32 v13, v15, v11
	s_wait_dscnt 0x0
	v_add_f32_e32 v13, v11, v13
	v_cndmask_b32_e64 v10, v11, v13, s0
	s_mov_b32 s0, exec_lo
	s_delay_alu instid0(VALU_DEP_1)
	v_cndmask_b32_e32 v7, v7, v10, vcc_lo
	v_cmpx_eq_u32_e32 0, v6
; %bb.606:
	v_lshrrev_b32_e32 v10, 3, v50
	s_delay_alu instid0(VALU_DEP_1)
	v_and_b32_e32 v10, 0x7c, v10
	ds_store_b32 v10, v7 offset:192
; %bb.607:
	s_or_b32 exec_lo, exec_lo, s0
	s_delay_alu instid0(SALU_CYCLE_1)
	s_mov_b32 s1, exec_lo
	s_wait_storecnt 0x0
	s_wait_loadcnt_dscnt 0x0
	s_barrier_signal -1
	s_barrier_wait -1
	v_cmpx_gt_u32_e32 8, v50
	s_cbranch_execz .LBB27_609
; %bb.608:
	ds_load_b32 v7, v9 offset:192
	v_and_b32_e32 v10, 7, v6
	v_or_b32_e32 v9, 16, v9
	s_delay_alu instid0(VALU_DEP_2) | instskip(SKIP_1) | instid1(VALU_DEP_1)
	v_cmp_ne_u32_e32 vcc_lo, 7, v10
	v_add_co_ci_u32_e64 v11, null, 0, v6, vcc_lo
	v_dual_lshlrev_b32 v11, 2, v11 :: v_dual_add_nc_u32 v8, 31, v8
	v_add_nc_u32_e32 v14, 1, v10
	v_cmp_gt_u32_e32 vcc_lo, 6, v10
	s_wait_dscnt 0x0
	ds_bpermute_b32 v11, v11, v7
	v_lshrrev_b32_e32 v8, 5, v8
	v_cndmask_b32_e64 v13, 0, 2, vcc_lo
	s_delay_alu instid0(VALU_DEP_1) | instskip(SKIP_3) | instid1(VALU_DEP_2)
	v_add_lshl_u32 v6, v13, v6, 2
	s_wait_dscnt 0x0
	v_dual_add_nc_u32 v13, 2, v10 :: v_dual_add_f32 v11, v7, v11
	v_cmp_lt_u32_e32 vcc_lo, v14, v8
	v_cmp_lt_u32_e64 s0, v13, v8
	s_delay_alu instid0(VALU_DEP_3) | instskip(SKIP_3) | instid1(VALU_DEP_1)
	v_cndmask_b32_e32 v11, v7, v11, vcc_lo
	ds_bpermute_b32 v6, v6, v11
	s_wait_dscnt 0x0
	v_add_f32_e32 v6, v11, v6
	v_cndmask_b32_e64 v6, v11, v6, s0
	ds_bpermute_b32 v9, v9, v6
	s_wait_dscnt 0x0
	v_dual_add_f32 v9, v6, v9 :: v_dual_add_nc_u32 v10, 4, v10
	s_delay_alu instid0(VALU_DEP_1) | instskip(NEXT) | instid1(VALU_DEP_1)
	v_cmp_lt_u32_e64 s0, v10, v8
	v_cndmask_b32_e64 v6, v6, v9, s0
	s_delay_alu instid0(VALU_DEP_1)
	v_cndmask_b32_e32 v7, v7, v6, vcc_lo
.LBB27_609:
	s_or_b32 exec_lo, exec_lo, s1
	s_delay_alu instid0(SALU_CYCLE_1)
	s_or_b32 exec_lo, exec_lo, s13
	v_cmp_eq_u32_e32 vcc_lo, 0, v50
	s_and_b32 exec_lo, exec_lo, vcc_lo
	s_cbranch_execnz .LBB27_4
	s_branch .LBB27_5
.LBB27_610:
	s_or_b32 exec_lo, exec_lo, s16
	v_add_min_u32_e64 v6, 0x80000001, v10, v10
	s_delay_alu instid0(VALU_DEP_1)
	v_add_min_u32_e64 v7, 0x80000001, v6, v6
.LBB27_611:
	s_or_b32 exec_lo, exec_lo, s13
	v_mov_b32_e32 v6, 0
	s_movk_i32 s3, 0x1388
	s_brev_b32 s2, 12
.LBB27_612:                             ; =>This Inner Loop Header: Depth=1
	v_mul_hi_u32 v8, 0xbc8f1391, v7
	s_delay_alu instid0(VALU_DEP_1) | instskip(NEXT) | instid1(VALU_DEP_1)
	v_lshrrev_b32_e32 v8, 15, v8
	v_mul_u32_u24_e32 v9, 0xadc8, v8
	s_delay_alu instid0(VALU_DEP_1) | instskip(SKIP_1) | instid1(VALU_DEP_2)
	v_sub_nc_u32_e32 v7, v7, v9
	v_mul_u32_u24_e32 v8, 0xd47, v8
	v_mul_lo_u32 v7, 0xbc8f, v7
	s_delay_alu instid0(VALU_DEP_2) | instskip(SKIP_1) | instid1(VALU_DEP_3)
	v_xor_b32_e32 v9, 0x7fffffff, v8
	v_sub_nc_u32_e32 v10, 0, v8
	v_cmp_lt_u32_e32 vcc_lo, v7, v8
	s_delay_alu instid0(VALU_DEP_2) | instskip(NEXT) | instid1(VALU_DEP_1)
	v_cndmask_b32_e32 v8, v10, v9, vcc_lo
	v_add_nc_u32_e32 v7, v8, v7
	s_delay_alu instid0(VALU_DEP_1) | instskip(NEXT) | instid1(VALU_DEP_1)
	v_mul_hi_u32 v8, 0xbc8f1391, v7
	v_lshrrev_b32_e32 v8, 15, v8
	s_delay_alu instid0(VALU_DEP_1) | instskip(SKIP_1) | instid1(VALU_DEP_2)
	v_mul_u32_u24_e32 v9, 0xadc8, v8
	v_mul_u32_u24_e32 v8, 0xd47, v8
	v_sub_nc_u32_e32 v9, v7, v9
	s_delay_alu instid0(VALU_DEP_2) | instskip(SKIP_1) | instid1(VALU_DEP_3)
	v_xor_b32_e32 v10, 0x7fffffff, v8
	v_add_nc_u32_e32 v7, -1, v7
	v_mul_lo_u32 v9, 0xbc8f, v9
	v_sub_nc_u32_e32 v11, 0, v8
	s_delay_alu instid0(VALU_DEP_2) | instskip(NEXT) | instid1(VALU_DEP_2)
	v_cmp_lt_u32_e32 vcc_lo, v9, v8
	v_cndmask_b32_e32 v8, v11, v10, vcc_lo
	s_delay_alu instid0(VALU_DEP_1) | instskip(NEXT) | instid1(VALU_DEP_1)
	v_add_nc_u32_e32 v9, v8, v9
	v_mul_hi_u32 v8, 0xbc8f1391, v9
	s_delay_alu instid0(VALU_DEP_1) | instskip(NEXT) | instid1(VALU_DEP_1)
	v_lshrrev_b32_e32 v8, 15, v8
	v_mul_u32_u24_e32 v10, 0xadc8, v8
	v_mul_u32_u24_e32 v8, 0xd47, v8
	s_delay_alu instid0(VALU_DEP_2) | instskip(NEXT) | instid1(VALU_DEP_2)
	v_sub_nc_u32_e32 v10, v9, v10
	v_xor_b32_e32 v11, 0x7fffffff, v8
	s_delay_alu instid0(VALU_DEP_2) | instskip(SKIP_1) | instid1(VALU_DEP_2)
	v_mul_lo_u32 v10, 0xbc8f, v10
	v_sub_nc_u32_e32 v13, 0, v8
	v_cmp_lt_u32_e32 vcc_lo, v10, v8
	s_delay_alu instid0(VALU_DEP_2) | instskip(NEXT) | instid1(VALU_DEP_1)
	v_dual_cndmask_b32 v8, v13, v11 :: v_dual_add_f32 v13, 1.0, v6
	v_add_nc_u32_e32 v10, v8, v10
	s_delay_alu instid0(VALU_DEP_1) | instskip(NEXT) | instid1(VALU_DEP_1)
	v_mul_hi_u32 v8, 0xbc8f1391, v10
	v_lshrrev_b32_e32 v8, 15, v8
	s_delay_alu instid0(VALU_DEP_1) | instskip(SKIP_2) | instid1(VALU_DEP_3)
	v_mul_u32_u24_e32 v11, 0xadc8, v8
	v_mul_u32_u24_e32 v16, 0xd47, v8
	v_cvt_f32_u32_e32 v8, v7
	v_sub_nc_u32_e32 v11, v10, v11
	s_delay_alu instid0(VALU_DEP_3) | instskip(SKIP_1) | instid1(VALU_DEP_3)
	v_xor_b32_e32 v7, 0x7fffffff, v16
	v_dual_sub_nc_u32 v17, 0, v16 :: v_dual_add_nc_u32 v10, -1, v10
	v_mul_lo_u32 v11, 0xbc8f, v11
	s_delay_alu instid0(VALU_DEP_2) | instskip(NEXT) | instid1(VALU_DEP_2)
	v_cvt_f32_u32_e32 v10, v10
	v_cmp_lt_u32_e32 vcc_lo, v11, v16
	s_delay_alu instid0(VALU_DEP_4) | instskip(NEXT) | instid1(VALU_DEP_1)
	v_dual_add_nc_u32 v9, -1, v9 :: v_dual_cndmask_b32 v7, v17, v7, vcc_lo
	v_cvt_f32_u32_e32 v9, v9
	s_delay_alu instid0(VALU_DEP_2) | instskip(NEXT) | instid1(VALU_DEP_2)
	v_add_nc_u32_e32 v7, v7, v11
	v_pk_fma_f32 v[8:9], v[8:9], s[2:3], 0 op_sel_hi:[1,0,0]
	s_delay_alu instid0(VALU_DEP_1) | instskip(NEXT) | instid1(VALU_DEP_1)
	v_pk_mul_f32 v[8:9], v[8:9], v[8:9]
	v_dual_add_f32 v16, v8, v9 :: v_dual_add_nc_u32 v11, -1, v7
	s_delay_alu instid0(VALU_DEP_1) | instskip(NEXT) | instid1(VALU_DEP_2)
	v_cvt_f32_u32_e32 v11, v11
	v_cmp_gt_f32_e32 vcc_lo, 0xf800000, v16
	s_delay_alu instid0(VALU_DEP_2) | instskip(SKIP_2) | instid1(SALU_CYCLE_1)
	v_pk_fma_f32 v[8:9], v[10:11], s[2:3], 0 op_sel_hi:[1,0,0]
	v_mul_f32_e32 v10, 0x4f800000, v16
	s_add_co_i32 s3, s3, -2
	s_cmp_lg_u32 s3, 0
	s_delay_alu instid0(VALU_DEP_2) | instskip(NEXT) | instid1(VALU_DEP_1)
	v_pk_mul_f32 v[8:9], v[8:9], v[8:9]
	v_add_f32_e32 v8, v8, v9
	s_delay_alu instid0(VALU_DEP_1) | instskip(NEXT) | instid1(VALU_DEP_1)
	v_dual_cndmask_b32 v10, v16, v10 :: v_dual_mul_f32 v11, 0x4f800000, v8
	v_sqrt_f32_e32 v9, v10
	v_nop
	s_delay_alu instid0(TRANS32_DEP_1) | instskip(SKIP_1) | instid1(VALU_DEP_2)
	v_add_nc_u32_e32 v16, -1, v9
	v_cmp_gt_f32_e64 s0, 0xf800000, v8
	v_fma_f32 v17, -v16, v9, v10
	s_delay_alu instid0(VALU_DEP_2) | instskip(NEXT) | instid1(VALU_DEP_2)
	v_dual_cndmask_b32 v8, v8, v11, s0 :: v_dual_add_nc_u32 v11, 1, v9
	v_cmp_ge_f32_e64 s1, 0, v17
	s_delay_alu instid0(VALU_DEP_2) | instskip(NEXT) | instid1(VALU_DEP_3)
	v_fma_f32 v19, -v11, v9, v10
	v_sqrt_f32_e32 v18, v8
	s_delay_alu instid0(VALU_DEP_2) | instskip(NEXT) | instid1(VALU_DEP_2)
	v_cndmask_b32_e64 v9, v9, v16, s1
	v_cmp_lt_f32_e64 s1, 0, v19
	s_delay_alu instid0(TRANS32_DEP_1) | instid1(VALU_DEP_1)
	v_dual_add_nc_u32 v16, -1, v18 :: v_dual_cndmask_b32 v9, v9, v11, s1
	s_delay_alu instid0(VALU_DEP_1) | instskip(NEXT) | instid1(VALU_DEP_1)
	v_dual_add_nc_u32 v11, 1, v18 :: v_dual_fma_f32 v17, -v16, v18, v8
	v_cmp_ge_f32_e64 s1, 0, v17
	s_delay_alu instid0(VALU_DEP_1) | instskip(NEXT) | instid1(VALU_DEP_1)
	v_dual_fma_f32 v20, -v11, v18, v8 :: v_dual_cndmask_b32 v16, v18, v16, s1
	v_cmp_lt_f32_e64 s1, 0, v20
	s_delay_alu instid0(VALU_DEP_1) | instskip(SKIP_1) | instid1(VALU_DEP_1)
	v_cndmask_b32_e64 v11, v16, v11, s1
	v_mul_f32_e32 v19, 0x37800000, v9
	v_cndmask_b32_e32 v9, v9, v19, vcc_lo
	v_cmp_class_f32_e64 vcc_lo, v10, 0x260
	s_delay_alu instid0(VALU_DEP_2) | instskip(NEXT) | instid1(VALU_DEP_1)
	v_dual_cndmask_b32 v9, v9, v10 :: v_dual_mul_f32 v10, 0x37800000, v11
	v_cmp_nge_f32_e32 vcc_lo, 1.0, v9
	s_delay_alu instid0(VALU_DEP_2) | instskip(SKIP_2) | instid1(VALU_DEP_1)
	v_cndmask_b32_e64 v9, v11, v10, s0
	v_cndmask_b32_e32 v6, v13, v6, vcc_lo
	v_cmp_class_f32_e64 vcc_lo, v8, 0x260
	v_dual_add_f32 v10, 1.0, v6 :: v_dual_cndmask_b32 v8, v9, v8, vcc_lo
	s_delay_alu instid0(VALU_DEP_1) | instskip(NEXT) | instid1(VALU_DEP_2)
	v_cmp_nge_f32_e32 vcc_lo, 1.0, v8
	v_cndmask_b32_e32 v6, v10, v6, vcc_lo
	s_cbranch_scc1 .LBB27_612
; %bb.613:
	s_delay_alu instid0(VALU_DEP_1) | instskip(NEXT) | instid1(VALU_DEP_1)
	v_mul_f32_e32 v6, 4.0, v6
	v_div_scale_f32 v7, null, 0x459c4000, 0x459c4000, v6
	s_delay_alu instid0(VALU_DEP_1) | instskip(SKIP_1) | instid1(TRANS32_DEP_1)
	v_rcp_f32_e32 v8, v7
	v_nop
	v_fma_f32 v9, -v7, v8, 1.0
	s_delay_alu instid0(VALU_DEP_1) | instskip(SKIP_1) | instid1(VALU_DEP_1)
	v_fmac_f32_e32 v8, v9, v8
	v_div_scale_f32 v10, vcc_lo, v6, 0x459c4000, v6
	v_mul_f32_e32 v9, v10, v8
	s_delay_alu instid0(VALU_DEP_1) | instskip(NEXT) | instid1(VALU_DEP_1)
	v_fma_f32 v11, -v7, v9, v10
	v_fmac_f32_e32 v9, v11, v8
	s_delay_alu instid0(VALU_DEP_1) | instskip(NEXT) | instid1(VALU_DEP_1)
	v_fma_f32 v7, -v7, v9, v10
	v_div_fmas_f32 v7, v7, v8, v9
	s_delay_alu instid0(VALU_DEP_1)
	v_div_fixup_f32 v6, v7, 0x459c4000, v6
	v_mov_b32_e32 v7, 0
.LBB27_614:
	s_or_b32 exec_lo, exec_lo, s12
	v_add_nc_u32_e32 v8, 0x100, v50
	s_delay_alu instid0(VALU_DEP_1)
	v_cmp_lt_u32_e64 s0, v8, v15
	s_and_saveexec_b32 s16, s0
	s_cbranch_execz .LBB27_664
; %bb.615:
	v_dual_add_nc_u32 v7, v12, v8 :: v_dual_mov_b32 v9, 1
	s_mov_b32 s3, 0
	s_mov_b32 s1, exec_lo
	s_delay_alu instid0(VALU_DEP_1) | instskip(NEXT) | instid1(VALU_DEP_1)
	v_mul_lo_u32 v8, 0x1388, v7
	v_cmpx_ne_u32_e32 0, v8
	s_cbranch_execz .LBB27_661
; %bb.616:
	v_mov_b32_e32 v9, 0
	v_mov_b64_e32 v[12:13], 1
	s_mov_b64 s[12:13], 0xbc8f
	s_mov_b64 s[6:7], 0xfffffffd
	;; [unrolled: 1-line block ×3, first 2 shown]
	v_mov_b64_e32 v[10:11], v[8:9]
	s_mov_b64 s[10:11], 0x80000001
	s_mov_b32 s17, 0
	s_branch .LBB27_618
.LBB27_617:                             ;   in Loop: Header=BB27_618 Depth=1
	s_or_b32 exec_lo, exec_lo, s2
	s_mul_u64 s[12:13], s[12:13], s[12:13]
	s_mov_b32 s19, s3
	s_and_b64 s[20:21], s[12:13], s[6:7]
	s_mov_b32 s2, s13
	s_mul_u64 s[22:23], s[20:21], 3
	s_mul_u64 s[24:25], s[2:3], 3
	s_mov_b32 s18, s23
	s_mul_u64 s[20:21], s[20:21], s[10:11]
	s_add_nc_u64 s[18:19], s[24:25], s[18:19]
	v_lshrrev_b64 v[16:17], 1, v[10:11]
	s_and_b64 s[24:25], s[18:19], s[8:9]
	s_mov_b32 s23, s3
	s_add_nc_u64 s[20:21], s[20:21], s[24:25]
	s_mov_b32 s27, s3
	s_mov_b32 s22, s19
	;; [unrolled: 1-line block ×3, first 2 shown]
	s_mul_u64 s[20:21], s[2:3], s[10:11]
	s_add_nc_u64 s[18:19], s[22:23], s[26:27]
	v_cmp_gt_u64_e32 vcc_lo, 2, v[10:11]
	s_add_nc_u64 s[18:19], s[20:21], s[18:19]
	v_mov_b64_e32 v[10:11], v[16:17]
	s_lshr_b64 s[18:19], s[18:19], 30
	s_delay_alu instid0(SALU_CYCLE_1)
	s_mul_u64 s[18:19], s[18:19], 0x7fffffff
	s_or_b32 s17, vcc_lo, s17
	s_sub_nc_u64 s[12:13], s[12:13], s[18:19]
	s_and_not1_b32 exec_lo, exec_lo, s17
	s_cbranch_execz .LBB27_660
.LBB27_618:                             ; =>This Inner Loop Header: Depth=1
	s_delay_alu instid0(VALU_DEP_1) | instskip(SKIP_1) | instid1(VALU_DEP_1)
	v_and_b32_e32 v7, 1, v10
	s_mov_b32 s2, exec_lo
	v_cmpx_eq_u32_e32 1, v7
	s_cbranch_execz .LBB27_617
; %bb.619:                              ;   in Loop: Header=BB27_618 Depth=1
	v_mul_u64_e32 v[12:13], s[12:13], v[12:13]
	s_delay_alu instid0(VALU_DEP_1) | instskip(NEXT) | instid1(VALU_DEP_1)
	v_mov_b32_e32 v8, v12
	v_mul_u64_e32 v[16:17], 5, v[8:9]
	s_delay_alu instid0(VALU_DEP_1) | instskip(NEXT) | instid1(VALU_DEP_1)
	v_mov_b32_e32 v8, v17
	v_mad_nc_u64_u32 v[16:17], v13, 5, v[8:9]
	s_delay_alu instid0(VALU_DEP_1) | instskip(NEXT) | instid1(VALU_DEP_1)
	v_dual_mov_b32 v8, v17 :: v_dual_mov_b32 v17, v9
	v_mad_nc_u64_u32 v[16:17], v12, 2, v[16:17]
	s_delay_alu instid0(VALU_DEP_1) | instskip(NEXT) | instid1(VALU_DEP_1)
	v_dual_mov_b32 v16, v17 :: v_dual_mov_b32 v17, v9
	v_add_nc_u64_e32 v[16:17], v[8:9], v[16:17]
	s_delay_alu instid0(VALU_DEP_1) | instskip(NEXT) | instid1(VALU_DEP_1)
	v_mad_nc_u64_u32 v[16:17], v13, 2, v[16:17]
	v_sub_nc_u64_e32 v[18:19], v[12:13], v[16:17]
	s_delay_alu instid0(VALU_DEP_1) | instskip(NEXT) | instid1(VALU_DEP_1)
	v_lshrrev_b64 v[18:19], 1, v[18:19]
	v_add_nc_u64_e32 v[16:17], v[18:19], v[16:17]
	s_delay_alu instid0(VALU_DEP_1) | instskip(NEXT) | instid1(VALU_DEP_1)
	v_lshrrev_b64 v[16:17], 30, v[16:17]
	v_mul_u64_e32 v[16:17], 0x7fffffff, v[16:17]
	s_delay_alu instid0(VALU_DEP_1)
	v_sub_nc_u64_e32 v[12:13], v[12:13], v[16:17]
	s_branch .LBB27_617
.LBB27_620:
	s_or_b32 exec_lo, exec_lo, s14
	v_add_min_u32_e64 v2, 0x80000001, v10, v10
	s_delay_alu instid0(VALU_DEP_1)
	v_add_min_u32_e64 v3, 0x80000001, v2, v2
.LBB27_621:
	s_or_b32 exec_lo, exec_lo, s13
	v_mov_b32_e32 v2, 0
	s_movk_i32 s3, 0x1388
	s_brev_b32 s2, 12
.LBB27_622:                             ; =>This Inner Loop Header: Depth=1
	v_mul_hi_u32 v4, 0xbc8f1391, v3
	s_delay_alu instid0(VALU_DEP_1) | instskip(NEXT) | instid1(VALU_DEP_1)
	v_lshrrev_b32_e32 v4, 15, v4
	v_mul_u32_u24_e32 v5, 0xadc8, v4
	s_delay_alu instid0(VALU_DEP_1) | instskip(SKIP_1) | instid1(VALU_DEP_2)
	v_sub_nc_u32_e32 v3, v3, v5
	v_mul_u32_u24_e32 v4, 0xd47, v4
	v_mul_lo_u32 v3, 0xbc8f, v3
	s_delay_alu instid0(VALU_DEP_2) | instskip(SKIP_1) | instid1(VALU_DEP_3)
	v_xor_b32_e32 v5, 0x7fffffff, v4
	v_sub_nc_u32_e32 v10, 0, v4
	v_cmp_lt_u32_e32 vcc_lo, v3, v4
	s_delay_alu instid0(VALU_DEP_2) | instskip(NEXT) | instid1(VALU_DEP_1)
	v_cndmask_b32_e32 v4, v10, v5, vcc_lo
	v_add_nc_u32_e32 v3, v4, v3
	s_delay_alu instid0(VALU_DEP_1) | instskip(NEXT) | instid1(VALU_DEP_1)
	v_mul_hi_u32 v4, 0xbc8f1391, v3
	v_lshrrev_b32_e32 v4, 15, v4
	s_delay_alu instid0(VALU_DEP_1) | instskip(SKIP_1) | instid1(VALU_DEP_2)
	v_mul_u32_u24_e32 v5, 0xadc8, v4
	v_mul_u32_u24_e32 v4, 0xd47, v4
	v_sub_nc_u32_e32 v5, v3, v5
	s_delay_alu instid0(VALU_DEP_2) | instskip(SKIP_1) | instid1(VALU_DEP_3)
	v_xor_b32_e32 v10, 0x7fffffff, v4
	v_add_nc_u32_e32 v3, -1, v3
	v_mul_lo_u32 v5, 0xbc8f, v5
	v_sub_nc_u32_e32 v11, 0, v4
	s_delay_alu instid0(VALU_DEP_2) | instskip(NEXT) | instid1(VALU_DEP_2)
	v_cmp_lt_u32_e32 vcc_lo, v5, v4
	v_cndmask_b32_e32 v4, v11, v10, vcc_lo
	s_delay_alu instid0(VALU_DEP_1) | instskip(NEXT) | instid1(VALU_DEP_1)
	v_add_nc_u32_e32 v5, v4, v5
	v_mul_hi_u32 v4, 0xbc8f1391, v5
	s_delay_alu instid0(VALU_DEP_1) | instskip(NEXT) | instid1(VALU_DEP_1)
	v_lshrrev_b32_e32 v4, 15, v4
	v_mul_u32_u24_e32 v10, 0xadc8, v4
	v_mul_u32_u24_e32 v4, 0xd47, v4
	s_delay_alu instid0(VALU_DEP_2) | instskip(NEXT) | instid1(VALU_DEP_2)
	v_sub_nc_u32_e32 v10, v5, v10
	v_xor_b32_e32 v11, 0x7fffffff, v4
	s_delay_alu instid0(VALU_DEP_2) | instskip(SKIP_1) | instid1(VALU_DEP_2)
	v_mul_lo_u32 v10, 0xbc8f, v10
	v_sub_nc_u32_e32 v12, 0, v4
	v_cmp_lt_u32_e32 vcc_lo, v10, v4
	s_delay_alu instid0(VALU_DEP_2) | instskip(NEXT) | instid1(VALU_DEP_1)
	v_dual_cndmask_b32 v4, v12, v11, vcc_lo :: v_dual_add_f32 v12, 1.0, v2
	v_add_nc_u32_e32 v10, v4, v10
	s_delay_alu instid0(VALU_DEP_1) | instskip(NEXT) | instid1(VALU_DEP_1)
	v_mul_hi_u32 v4, 0xbc8f1391, v10
	v_lshrrev_b32_e32 v4, 15, v4
	s_delay_alu instid0(VALU_DEP_1) | instskip(SKIP_2) | instid1(VALU_DEP_3)
	v_mul_u32_u24_e32 v11, 0xadc8, v4
	v_mul_u32_u24_e32 v13, 0xd47, v4
	v_cvt_f32_u32_e32 v4, v3
	v_sub_nc_u32_e32 v11, v10, v11
	s_delay_alu instid0(VALU_DEP_3) | instskip(SKIP_1) | instid1(VALU_DEP_3)
	v_xor_b32_e32 v3, 0x7fffffff, v13
	v_dual_sub_nc_u32 v14, 0, v13 :: v_dual_add_nc_u32 v10, -1, v10
	v_mul_lo_u32 v11, 0xbc8f, v11
	s_delay_alu instid0(VALU_DEP_2) | instskip(NEXT) | instid1(VALU_DEP_2)
	v_cvt_f32_u32_e32 v10, v10
	v_cmp_lt_u32_e32 vcc_lo, v11, v13
	s_delay_alu instid0(VALU_DEP_4) | instskip(NEXT) | instid1(VALU_DEP_1)
	v_dual_add_nc_u32 v5, -1, v5 :: v_dual_cndmask_b32 v3, v14, v3, vcc_lo
	v_cvt_f32_u32_e32 v5, v5
	s_delay_alu instid0(VALU_DEP_2) | instskip(NEXT) | instid1(VALU_DEP_2)
	v_add_nc_u32_e32 v3, v3, v11
	v_pk_fma_f32 v[4:5], v[4:5], s[2:3], 0 op_sel_hi:[1,0,0]
	s_delay_alu instid0(VALU_DEP_1) | instskip(NEXT) | instid1(VALU_DEP_1)
	v_pk_mul_f32 v[4:5], v[4:5], v[4:5]
	v_dual_add_nc_u32 v11, -1, v3 :: v_dual_add_f32 v13, v4, v5
	s_delay_alu instid0(VALU_DEP_1) | instskip(NEXT) | instid1(VALU_DEP_2)
	v_cvt_f32_u32_e32 v11, v11
	v_cmp_gt_f32_e32 vcc_lo, 0xf800000, v13
	s_delay_alu instid0(VALU_DEP_2) | instskip(SKIP_1) | instid1(SALU_CYCLE_1)
	v_pk_fma_f32 v[4:5], v[10:11], s[2:3], 0 op_sel_hi:[1,0,0]
	s_add_co_i32 s3, s3, -2
	s_cmp_lg_u32 s3, 0
	s_delay_alu instid0(VALU_DEP_1) | instskip(NEXT) | instid1(VALU_DEP_1)
	v_pk_mul_f32 v[4:5], v[4:5], v[4:5]
	v_add_f32_e32 v4, v4, v5
	s_delay_alu instid0(VALU_DEP_1) | instskip(NEXT) | instid1(VALU_DEP_1)
	v_dual_mul_f32 v10, 0x4f800000, v13 :: v_dual_mul_f32 v11, 0x4f800000, v4
	v_cndmask_b32_e32 v10, v13, v10, vcc_lo
	v_cmp_gt_f32_e64 s0, 0xf800000, v4
	s_delay_alu instid0(VALU_DEP_2) | instskip(SKIP_1) | instid1(TRANS32_DEP_1)
	v_sqrt_f32_e32 v5, v10
	v_nop
	v_dual_add_nc_u32 v13, -1, v5 :: v_dual_cndmask_b32 v4, v4, v11, s0
	s_delay_alu instid0(VALU_DEP_1) | instskip(NEXT) | instid1(VALU_DEP_2)
	v_dual_add_nc_u32 v11, 1, v5 :: v_dual_fma_f32 v14, -v13, v5, v10
	v_sqrt_f32_e32 v15, v4
	s_delay_alu instid0(VALU_DEP_1) | instskip(NEXT) | instid1(VALU_DEP_2)
	v_fma_f32 v19, -v11, v5, v10
	v_cmp_ge_f32_e64 s1, 0, v14
	s_delay_alu instid0(TRANS32_DEP_1) | instid1(VALU_DEP_1)
	v_dual_cndmask_b32 v5, v5, v13, s1 :: v_dual_add_nc_u32 v13, -1, v15
	s_delay_alu instid0(VALU_DEP_3) | instskip(NEXT) | instid1(VALU_DEP_1)
	v_cmp_lt_f32_e64 s1, 0, v19
	v_cndmask_b32_e64 v5, v5, v11, s1
	s_delay_alu instid0(VALU_DEP_3) | instskip(NEXT) | instid1(VALU_DEP_1)
	v_dual_add_nc_u32 v11, 1, v15 :: v_dual_fma_f32 v14, -v13, v15, v4
	v_fma_f32 v20, -v11, v15, v4
	s_delay_alu instid0(VALU_DEP_2) | instskip(NEXT) | instid1(VALU_DEP_1)
	v_cmp_ge_f32_e64 s1, 0, v14
	v_cndmask_b32_e64 v13, v15, v13, s1
	s_delay_alu instid0(VALU_DEP_3) | instskip(NEXT) | instid1(VALU_DEP_1)
	v_cmp_lt_f32_e64 s1, 0, v20
	v_cndmask_b32_e64 v11, v13, v11, s1
	v_mul_f32_e32 v19, 0x37800000, v5
	s_delay_alu instid0(VALU_DEP_1) | instskip(SKIP_1) | instid1(VALU_DEP_2)
	v_cndmask_b32_e32 v5, v5, v19, vcc_lo
	v_cmp_class_f32_e64 vcc_lo, v10, 0x260
	v_dual_cndmask_b32 v5, v5, v10 :: v_dual_mul_f32 v10, 0x37800000, v11
	s_delay_alu instid0(VALU_DEP_1) | instskip(NEXT) | instid1(VALU_DEP_2)
	v_cmp_nge_f32_e32 vcc_lo, 1.0, v5
	v_cndmask_b32_e64 v5, v11, v10, s0
	v_cndmask_b32_e32 v2, v12, v2, vcc_lo
	v_cmp_class_f32_e64 vcc_lo, v4, 0x260
	s_delay_alu instid0(VALU_DEP_1) | instskip(NEXT) | instid1(VALU_DEP_1)
	v_dual_add_f32 v10, 1.0, v2 :: v_dual_cndmask_b32 v4, v5, v4, vcc_lo
	v_cmp_nge_f32_e32 vcc_lo, 1.0, v4
	s_delay_alu instid0(VALU_DEP_2)
	v_cndmask_b32_e32 v2, v10, v2, vcc_lo
	s_cbranch_scc1 .LBB27_622
; %bb.623:
	s_delay_alu instid0(VALU_DEP_1) | instskip(NEXT) | instid1(VALU_DEP_1)
	v_mul_f32_e32 v2, 4.0, v2
	v_div_scale_f32 v3, null, 0x459c4000, 0x459c4000, v2
	s_delay_alu instid0(VALU_DEP_1) | instskip(SKIP_1) | instid1(TRANS32_DEP_1)
	v_rcp_f32_e32 v4, v3
	v_nop
	v_fma_f32 v5, -v3, v4, 1.0
	s_delay_alu instid0(VALU_DEP_1) | instskip(SKIP_1) | instid1(VALU_DEP_1)
	v_fmac_f32_e32 v4, v5, v4
	v_div_scale_f32 v10, vcc_lo, v2, 0x459c4000, v2
	v_mul_f32_e32 v11, v10, v4
	s_delay_alu instid0(VALU_DEP_1) | instskip(NEXT) | instid1(VALU_DEP_1)
	v_fma_f32 v5, -v3, v11, v10
	v_dual_fmac_f32 v11, v5, v4 :: v_dual_mov_b32 v5, 0
	s_delay_alu instid0(VALU_DEP_1) | instskip(NEXT) | instid1(VALU_DEP_1)
	v_fma_f32 v3, -v3, v11, v10
	v_div_fmas_f32 v3, v3, v4, v11
	s_delay_alu instid0(VALU_DEP_3) | instskip(NEXT) | instid1(VALU_DEP_2)
	v_mov_b32_e32 v4, v5
	v_div_fixup_f32 v2, v3, 0x459c4000, v2
	v_mov_b32_e32 v3, v5
.LBB27_624:
	s_or_b32 exec_lo, exec_lo, s12
	v_add_nc_u32_e32 v10, 0x100, v50
	s_delay_alu instid0(VALU_DEP_1)
	v_cmp_lt_u32_e64 s0, v10, v17
	s_and_saveexec_b32 s14, s0
	s_cbranch_execz .LBB27_673
; %bb.625:
	v_dual_add_nc_u32 v5, v18, v10 :: v_dual_mov_b32 v11, 1
	s_mov_b32 s3, 0
	s_mov_b32 s1, exec_lo
	s_delay_alu instid0(VALU_DEP_1) | instskip(NEXT) | instid1(VALU_DEP_1)
	v_mul_lo_u32 v10, 0x1388, v5
	v_cmpx_ne_u32_e32 0, v10
	s_cbranch_execz .LBB27_670
; %bb.626:
	v_mov_b32_e32 v11, 0
	v_mov_b64_e32 v[14:15], 1
	s_mov_b64 s[12:13], 0xbc8f
	s_mov_b64 s[4:5], 0xfffffffd
	;; [unrolled: 1-line block ×3, first 2 shown]
	v_mov_b64_e32 v[12:13], v[10:11]
	s_mov_b64 s[10:11], 0x80000001
	s_mov_b32 s15, 0
	s_branch .LBB27_628
.LBB27_627:                             ;   in Loop: Header=BB27_628 Depth=1
	s_or_b32 exec_lo, exec_lo, s2
	s_mul_u64 s[12:13], s[12:13], s[12:13]
	s_mov_b32 s19, s3
	s_and_b64 s[20:21], s[12:13], s[4:5]
	s_mov_b32 s2, s13
	s_mul_u64 s[22:23], s[20:21], 3
	s_mul_u64 s[24:25], s[2:3], 3
	s_mov_b32 s18, s23
	s_mul_u64 s[20:21], s[20:21], s[10:11]
	s_add_nc_u64 s[18:19], s[24:25], s[18:19]
	v_lshrrev_b64 v[20:21], 1, v[12:13]
	s_and_b64 s[24:25], s[18:19], s[8:9]
	s_mov_b32 s23, s3
	s_add_nc_u64 s[20:21], s[20:21], s[24:25]
	s_mov_b32 s27, s3
	s_mov_b32 s22, s19
	;; [unrolled: 1-line block ×3, first 2 shown]
	s_mul_u64 s[20:21], s[2:3], s[10:11]
	s_add_nc_u64 s[18:19], s[22:23], s[26:27]
	v_cmp_gt_u64_e32 vcc_lo, 2, v[12:13]
	s_add_nc_u64 s[18:19], s[20:21], s[18:19]
	v_mov_b64_e32 v[12:13], v[20:21]
	s_lshr_b64 s[18:19], s[18:19], 30
	s_delay_alu instid0(SALU_CYCLE_1)
	s_mul_u64 s[18:19], s[18:19], 0x7fffffff
	s_or_b32 s15, vcc_lo, s15
	s_sub_nc_u64 s[12:13], s[12:13], s[18:19]
	s_and_not1_b32 exec_lo, exec_lo, s15
	s_cbranch_execz .LBB27_669
.LBB27_628:                             ; =>This Inner Loop Header: Depth=1
	s_delay_alu instid0(VALU_DEP_1) | instskip(SKIP_1) | instid1(VALU_DEP_1)
	v_and_b32_e32 v5, 1, v12
	s_mov_b32 s2, exec_lo
	v_cmpx_eq_u32_e32 1, v5
	s_cbranch_execz .LBB27_627
; %bb.629:                              ;   in Loop: Header=BB27_628 Depth=1
	v_mul_u64_e32 v[14:15], s[12:13], v[14:15]
	s_delay_alu instid0(VALU_DEP_1) | instskip(NEXT) | instid1(VALU_DEP_1)
	v_mov_b32_e32 v10, v14
	v_mul_u64_e32 v[20:21], 5, v[10:11]
	s_delay_alu instid0(VALU_DEP_1) | instskip(NEXT) | instid1(VALU_DEP_1)
	v_mov_b32_e32 v10, v21
	v_mad_nc_u64_u32 v[20:21], v15, 5, v[10:11]
	s_delay_alu instid0(VALU_DEP_1) | instskip(NEXT) | instid1(VALU_DEP_1)
	v_dual_mov_b32 v10, v21 :: v_dual_mov_b32 v21, v11
	v_mad_nc_u64_u32 v[20:21], v14, 2, v[20:21]
	s_delay_alu instid0(VALU_DEP_1) | instskip(NEXT) | instid1(VALU_DEP_1)
	v_dual_mov_b32 v20, v21 :: v_dual_mov_b32 v21, v11
	v_add_nc_u64_e32 v[20:21], v[10:11], v[20:21]
	s_delay_alu instid0(VALU_DEP_1) | instskip(NEXT) | instid1(VALU_DEP_1)
	v_mad_nc_u64_u32 v[20:21], v15, 2, v[20:21]
	v_sub_nc_u64_e32 v[22:23], v[14:15], v[20:21]
	s_delay_alu instid0(VALU_DEP_1) | instskip(NEXT) | instid1(VALU_DEP_1)
	v_lshrrev_b64 v[22:23], 1, v[22:23]
	v_add_nc_u64_e32 v[20:21], v[22:23], v[20:21]
	s_delay_alu instid0(VALU_DEP_1) | instskip(NEXT) | instid1(VALU_DEP_1)
	v_lshrrev_b64 v[20:21], 30, v[20:21]
	v_mul_u64_e32 v[20:21], 0x7fffffff, v[20:21]
	s_delay_alu instid0(VALU_DEP_1)
	v_sub_nc_u64_e32 v[14:15], v[14:15], v[20:21]
	s_branch .LBB27_627
.LBB27_630:
	s_or_b32 exec_lo, exec_lo, s14
	v_add_min_u32_e64 v2, 0x80000001, v6, v6
	s_delay_alu instid0(VALU_DEP_1)
	v_add_min_u32_e64 v3, 0x80000001, v2, v2
.LBB27_631:
	s_or_b32 exec_lo, exec_lo, s13
	v_mov_b32_e32 v2, 0
	s_movk_i32 s3, 0x1388
	s_brev_b32 s2, 12
.LBB27_632:                             ; =>This Inner Loop Header: Depth=1
	v_mul_hi_u32 v4, 0xbc8f1391, v3
	s_delay_alu instid0(VALU_DEP_1) | instskip(NEXT) | instid1(VALU_DEP_1)
	v_lshrrev_b32_e32 v4, 15, v4
	v_mul_u32_u24_e32 v5, 0xadc8, v4
	s_delay_alu instid0(VALU_DEP_1) | instskip(SKIP_1) | instid1(VALU_DEP_2)
	v_sub_nc_u32_e32 v3, v3, v5
	v_mul_u32_u24_e32 v4, 0xd47, v4
	v_mul_lo_u32 v3, 0xbc8f, v3
	s_delay_alu instid0(VALU_DEP_2) | instskip(SKIP_1) | instid1(VALU_DEP_3)
	v_xor_b32_e32 v5, 0x7fffffff, v4
	v_sub_nc_u32_e32 v6, 0, v4
	v_cmp_lt_u32_e32 vcc_lo, v3, v4
	s_delay_alu instid0(VALU_DEP_2) | instskip(NEXT) | instid1(VALU_DEP_1)
	v_cndmask_b32_e32 v4, v6, v5, vcc_lo
	v_add_nc_u32_e32 v3, v4, v3
	s_delay_alu instid0(VALU_DEP_1) | instskip(NEXT) | instid1(VALU_DEP_1)
	v_mul_hi_u32 v4, 0xbc8f1391, v3
	v_lshrrev_b32_e32 v4, 15, v4
	s_delay_alu instid0(VALU_DEP_1) | instskip(SKIP_1) | instid1(VALU_DEP_2)
	v_mul_u32_u24_e32 v5, 0xadc8, v4
	v_mul_u32_u24_e32 v4, 0xd47, v4
	v_sub_nc_u32_e32 v5, v3, v5
	s_delay_alu instid0(VALU_DEP_2) | instskip(SKIP_1) | instid1(VALU_DEP_3)
	v_xor_b32_e32 v6, 0x7fffffff, v4
	v_add_nc_u32_e32 v3, -1, v3
	v_mul_lo_u32 v5, 0xbc8f, v5
	v_sub_nc_u32_e32 v7, 0, v4
	s_delay_alu instid0(VALU_DEP_2) | instskip(NEXT) | instid1(VALU_DEP_2)
	v_cmp_lt_u32_e32 vcc_lo, v5, v4
	v_cndmask_b32_e32 v4, v7, v6, vcc_lo
	s_delay_alu instid0(VALU_DEP_1) | instskip(NEXT) | instid1(VALU_DEP_1)
	v_add_nc_u32_e32 v5, v4, v5
	v_mul_hi_u32 v4, 0xbc8f1391, v5
	s_delay_alu instid0(VALU_DEP_1) | instskip(NEXT) | instid1(VALU_DEP_1)
	v_lshrrev_b32_e32 v4, 15, v4
	v_mul_u32_u24_e32 v6, 0xadc8, v4
	v_mul_u32_u24_e32 v4, 0xd47, v4
	s_delay_alu instid0(VALU_DEP_2) | instskip(NEXT) | instid1(VALU_DEP_2)
	v_sub_nc_u32_e32 v6, v5, v6
	v_xor_b32_e32 v7, 0x7fffffff, v4
	s_delay_alu instid0(VALU_DEP_2) | instskip(SKIP_1) | instid1(VALU_DEP_2)
	v_mul_lo_u32 v6, 0xbc8f, v6
	v_sub_nc_u32_e32 v8, 0, v4
	v_cmp_lt_u32_e32 vcc_lo, v6, v4
	s_delay_alu instid0(VALU_DEP_2) | instskip(NEXT) | instid1(VALU_DEP_1)
	v_dual_cndmask_b32 v4, v8, v7, vcc_lo :: v_dual_add_f32 v8, 1.0, v2
	v_add_nc_u32_e32 v6, v4, v6
	s_delay_alu instid0(VALU_DEP_1) | instskip(NEXT) | instid1(VALU_DEP_1)
	v_mul_hi_u32 v4, 0xbc8f1391, v6
	v_lshrrev_b32_e32 v4, 15, v4
	s_delay_alu instid0(VALU_DEP_1) | instskip(SKIP_2) | instid1(VALU_DEP_3)
	v_mul_u32_u24_e32 v7, 0xadc8, v4
	v_mul_u32_u24_e32 v9, 0xd47, v4
	v_cvt_f32_u32_e32 v4, v3
	v_sub_nc_u32_e32 v7, v6, v7
	s_delay_alu instid0(VALU_DEP_3) | instskip(SKIP_1) | instid1(VALU_DEP_3)
	v_xor_b32_e32 v3, 0x7fffffff, v9
	v_dual_sub_nc_u32 v14, 0, v9 :: v_dual_add_nc_u32 v6, -1, v6
	v_mul_lo_u32 v7, 0xbc8f, v7
	s_delay_alu instid0(VALU_DEP_2) | instskip(NEXT) | instid1(VALU_DEP_2)
	v_cvt_f32_u32_e32 v6, v6
	v_cmp_lt_u32_e32 vcc_lo, v7, v9
	s_delay_alu instid0(VALU_DEP_4) | instskip(NEXT) | instid1(VALU_DEP_1)
	v_dual_add_nc_u32 v5, -1, v5 :: v_dual_cndmask_b32 v3, v14, v3, vcc_lo
	v_cvt_f32_u32_e32 v5, v5
	s_delay_alu instid0(VALU_DEP_2) | instskip(NEXT) | instid1(VALU_DEP_2)
	v_add_nc_u32_e32 v3, v3, v7
	v_pk_fma_f32 v[4:5], v[4:5], s[2:3], 0 op_sel_hi:[1,0,0]
	s_delay_alu instid0(VALU_DEP_1) | instskip(NEXT) | instid1(VALU_DEP_1)
	v_pk_mul_f32 v[4:5], v[4:5], v[4:5]
	v_dual_add_nc_u32 v7, -1, v3 :: v_dual_add_f32 v9, v4, v5
	s_delay_alu instid0(VALU_DEP_1) | instskip(NEXT) | instid1(VALU_DEP_2)
	v_cvt_f32_u32_e32 v7, v7
	v_cmp_gt_f32_e32 vcc_lo, 0xf800000, v9
	s_delay_alu instid0(VALU_DEP_2) | instskip(SKIP_1) | instid1(SALU_CYCLE_1)
	v_pk_fma_f32 v[4:5], v[6:7], s[2:3], 0 op_sel_hi:[1,0,0]
	s_add_co_i32 s3, s3, -2
	s_cmp_lg_u32 s3, 0
	s_delay_alu instid0(VALU_DEP_1) | instskip(NEXT) | instid1(VALU_DEP_1)
	v_pk_mul_f32 v[4:5], v[4:5], v[4:5]
	v_add_f32_e32 v4, v4, v5
	s_delay_alu instid0(VALU_DEP_1) | instskip(NEXT) | instid1(VALU_DEP_1)
	v_dual_mul_f32 v6, 0x4f800000, v9 :: v_dual_mul_f32 v7, 0x4f800000, v4
	v_cndmask_b32_e32 v6, v9, v6, vcc_lo
	v_cmp_gt_f32_e64 s0, 0xf800000, v4
	s_delay_alu instid0(VALU_DEP_2) | instskip(SKIP_1) | instid1(TRANS32_DEP_1)
	v_sqrt_f32_e32 v5, v6
	v_nop
	v_dual_add_nc_u32 v9, -1, v5 :: v_dual_cndmask_b32 v4, v4, v7, s0
	s_delay_alu instid0(VALU_DEP_1) | instskip(NEXT) | instid1(VALU_DEP_2)
	v_dual_add_nc_u32 v7, 1, v5 :: v_dual_fma_f32 v14, -v9, v5, v6
	v_sqrt_f32_e32 v15, v4
	s_delay_alu instid0(VALU_DEP_1) | instskip(NEXT) | instid1(VALU_DEP_2)
	v_fma_f32 v16, -v7, v5, v6
	v_cmp_ge_f32_e64 s1, 0, v14
	s_delay_alu instid0(TRANS32_DEP_1) | instid1(VALU_DEP_1)
	v_dual_cndmask_b32 v5, v5, v9, s1 :: v_dual_add_nc_u32 v9, -1, v15
	s_delay_alu instid0(VALU_DEP_3) | instskip(NEXT) | instid1(VALU_DEP_1)
	v_cmp_lt_f32_e64 s1, 0, v16
	v_cndmask_b32_e64 v5, v5, v7, s1
	s_delay_alu instid0(VALU_DEP_3) | instskip(NEXT) | instid1(VALU_DEP_1)
	v_dual_add_nc_u32 v7, 1, v15 :: v_dual_fma_f32 v14, -v9, v15, v4
	v_fma_f32 v17, -v7, v15, v4
	s_delay_alu instid0(VALU_DEP_2) | instskip(NEXT) | instid1(VALU_DEP_1)
	v_cmp_ge_f32_e64 s1, 0, v14
	v_cndmask_b32_e64 v9, v15, v9, s1
	v_mul_f32_e32 v16, 0x37800000, v5
	s_delay_alu instid0(VALU_DEP_4) | instskip(NEXT) | instid1(VALU_DEP_1)
	v_cmp_lt_f32_e64 s1, 0, v17
	v_cndmask_b32_e64 v7, v9, v7, s1
	s_delay_alu instid0(VALU_DEP_3) | instskip(SKIP_1) | instid1(VALU_DEP_2)
	v_cndmask_b32_e32 v5, v5, v16, vcc_lo
	v_cmp_class_f32_e64 vcc_lo, v6, 0x260
	v_cndmask_b32_e32 v5, v5, v6, vcc_lo
	s_delay_alu instid0(VALU_DEP_1) | instskip(SKIP_3) | instid1(VALU_DEP_2)
	v_cmp_nge_f32_e32 vcc_lo, 1.0, v5
	v_cndmask_b32_e32 v2, v8, v2, vcc_lo
	v_mul_f32_e32 v6, 0x37800000, v7
	v_cmp_class_f32_e64 vcc_lo, v4, 0x260
	v_cndmask_b32_e64 v5, v7, v6, s0
	s_delay_alu instid0(VALU_DEP_1) | instskip(NEXT) | instid1(VALU_DEP_1)
	v_dual_add_f32 v6, 1.0, v2 :: v_dual_cndmask_b32 v4, v5, v4, vcc_lo
	v_cmp_nge_f32_e32 vcc_lo, 1.0, v4
	s_delay_alu instid0(VALU_DEP_2)
	v_cndmask_b32_e32 v2, v6, v2, vcc_lo
	s_cbranch_scc1 .LBB27_632
; %bb.633:
	s_delay_alu instid0(VALU_DEP_1) | instskip(NEXT) | instid1(VALU_DEP_1)
	v_mul_f32_e32 v2, 4.0, v2
	v_div_scale_f32 v4, null, 0x459c4000, 0x459c4000, v2
	s_delay_alu instid0(VALU_DEP_1) | instskip(SKIP_1) | instid1(TRANS32_DEP_1)
	v_rcp_f32_e32 v5, v4
	v_nop
	v_fma_f32 v3, -v4, v5, 1.0
	s_delay_alu instid0(VALU_DEP_1) | instskip(SKIP_1) | instid1(VALU_DEP_1)
	v_fmac_f32_e32 v5, v3, v5
	v_div_scale_f32 v6, vcc_lo, v2, 0x459c4000, v2
	v_mul_f32_e32 v7, v6, v5
	s_delay_alu instid0(VALU_DEP_1) | instskip(NEXT) | instid1(VALU_DEP_1)
	v_fma_f32 v3, -v4, v7, v6
	v_dual_fmac_f32 v7, v3, v5 :: v_dual_mov_b32 v3, 0
	s_delay_alu instid0(VALU_DEP_1) | instskip(SKIP_1) | instid1(VALU_DEP_2)
	v_dual_fma_f32 v6, -v4, v7, v6 :: v_dual_mov_b32 v4, v3
	v_dual_mov_b32 v9, v3 :: v_dual_mov_b32 v8, v3
	v_div_fmas_f32 v7, v6, v5, v7
	v_dual_mov_b32 v5, v3 :: v_dual_mov_b32 v6, v3
	s_delay_alu instid0(VALU_DEP_2)
	v_div_fixup_f32 v2, v7, 0x459c4000, v2
	v_mov_b32_e32 v7, v3
.LBB27_634:
	s_or_b32 exec_lo, exec_lo, s12
	v_add_nc_u32_e32 v14, 0x100, v50
	s_delay_alu instid0(VALU_DEP_1)
	v_cmp_lt_u32_e64 s0, v14, v21
	s_and_saveexec_b32 s14, s0
	s_cbranch_execz .LBB27_683
; %bb.635:
	v_dual_add_nc_u32 v3, v22, v14 :: v_dual_mov_b32 v15, 1
	s_mov_b32 s3, 0
	s_mov_b32 s1, exec_lo
	s_delay_alu instid0(VALU_DEP_1) | instskip(NEXT) | instid1(VALU_DEP_1)
	v_mul_lo_u32 v14, 0x1388, v3
	v_cmpx_ne_u32_e32 0, v14
	s_cbranch_execz .LBB27_680
; %bb.636:
	v_mov_b32_e32 v15, 0
	v_mov_b64_e32 v[18:19], 1
	s_mov_b64 s[12:13], 0xbc8f
	s_mov_b64 s[4:5], 0xfffffffd
	s_mov_b64 s[6:7], 0xffffffff
	v_mov_b64_e32 v[16:17], v[14:15]
	s_mov_b64 s[8:9], 0x80000001
	s_mov_b32 s15, 0
	s_branch .LBB27_638
.LBB27_637:                             ;   in Loop: Header=BB27_638 Depth=1
	s_or_b32 exec_lo, exec_lo, s2
	s_mul_u64 s[12:13], s[12:13], s[12:13]
	s_mov_b32 s17, s3
	s_and_b64 s[18:19], s[12:13], s[4:5]
	s_mov_b32 s2, s13
	s_mul_u64 s[22:23], s[18:19], 3
	s_mul_u64 s[24:25], s[2:3], 3
	s_mov_b32 s16, s23
	s_mul_u64 s[18:19], s[18:19], s[8:9]
	s_add_nc_u64 s[16:17], s[24:25], s[16:17]
	v_lshrrev_b64 v[24:25], 1, v[16:17]
	s_and_b64 s[24:25], s[16:17], s[6:7]
	s_mov_b32 s23, s3
	s_add_nc_u64 s[18:19], s[18:19], s[24:25]
	s_mov_b32 s27, s3
	s_mov_b32 s22, s17
	;; [unrolled: 1-line block ×3, first 2 shown]
	s_mul_u64 s[18:19], s[2:3], s[8:9]
	s_add_nc_u64 s[16:17], s[22:23], s[26:27]
	v_cmp_gt_u64_e32 vcc_lo, 2, v[16:17]
	s_add_nc_u64 s[16:17], s[18:19], s[16:17]
	v_mov_b64_e32 v[16:17], v[24:25]
	s_lshr_b64 s[16:17], s[16:17], 30
	s_delay_alu instid0(SALU_CYCLE_1)
	s_mul_u64 s[16:17], s[16:17], 0x7fffffff
	s_or_b32 s15, vcc_lo, s15
	s_sub_nc_u64 s[12:13], s[12:13], s[16:17]
	s_and_not1_b32 exec_lo, exec_lo, s15
	s_cbranch_execz .LBB27_679
.LBB27_638:                             ; =>This Inner Loop Header: Depth=1
	s_delay_alu instid0(VALU_DEP_1) | instskip(SKIP_1) | instid1(VALU_DEP_1)
	v_and_b32_e32 v3, 1, v16
	s_mov_b32 s2, exec_lo
	v_cmpx_eq_u32_e32 1, v3
	s_cbranch_execz .LBB27_637
; %bb.639:                              ;   in Loop: Header=BB27_638 Depth=1
	v_mul_u64_e32 v[18:19], s[12:13], v[18:19]
	s_delay_alu instid0(VALU_DEP_1) | instskip(NEXT) | instid1(VALU_DEP_1)
	v_mov_b32_e32 v14, v18
	v_mul_u64_e32 v[24:25], 5, v[14:15]
	s_delay_alu instid0(VALU_DEP_1) | instskip(NEXT) | instid1(VALU_DEP_1)
	v_mov_b32_e32 v14, v25
	v_mad_nc_u64_u32 v[24:25], v19, 5, v[14:15]
	s_delay_alu instid0(VALU_DEP_1) | instskip(NEXT) | instid1(VALU_DEP_1)
	v_dual_mov_b32 v14, v25 :: v_dual_mov_b32 v25, v15
	v_mad_nc_u64_u32 v[24:25], v18, 2, v[24:25]
	s_delay_alu instid0(VALU_DEP_1) | instskip(NEXT) | instid1(VALU_DEP_1)
	v_dual_mov_b32 v24, v25 :: v_dual_mov_b32 v25, v15
	v_add_nc_u64_e32 v[24:25], v[14:15], v[24:25]
	s_delay_alu instid0(VALU_DEP_1) | instskip(NEXT) | instid1(VALU_DEP_1)
	v_mad_nc_u64_u32 v[24:25], v19, 2, v[24:25]
	v_sub_nc_u64_e32 v[26:27], v[18:19], v[24:25]
	s_delay_alu instid0(VALU_DEP_1) | instskip(NEXT) | instid1(VALU_DEP_1)
	v_lshrrev_b64 v[26:27], 1, v[26:27]
	v_add_nc_u64_e32 v[24:25], v[26:27], v[24:25]
	s_delay_alu instid0(VALU_DEP_1) | instskip(NEXT) | instid1(VALU_DEP_1)
	v_lshrrev_b64 v[24:25], 30, v[24:25]
	v_mul_u64_e32 v[24:25], 0x7fffffff, v[24:25]
	s_delay_alu instid0(VALU_DEP_1)
	v_sub_nc_u64_e32 v[18:19], v[18:19], v[24:25]
	s_branch .LBB27_637
.LBB27_640:
	s_or_b32 exec_lo, exec_lo, s12
	v_add_min_u32_e64 v2, 0x80000001, v6, v6
	s_delay_alu instid0(VALU_DEP_1)
	v_add_min_u32_e64 v3, 0x80000001, v2, v2
.LBB27_641:
	s_or_b32 exec_lo, exec_lo, s11
	v_mov_b32_e32 v2, 0
	s_movk_i32 s3, 0x1388
	s_brev_b32 s2, 12
.LBB27_642:                             ; =>This Inner Loop Header: Depth=1
	v_mul_hi_u32 v4, 0xbc8f1391, v3
	s_delay_alu instid0(VALU_DEP_1) | instskip(NEXT) | instid1(VALU_DEP_1)
	v_lshrrev_b32_e32 v4, 15, v4
	v_mul_u32_u24_e32 v5, 0xadc8, v4
	s_delay_alu instid0(VALU_DEP_1) | instskip(SKIP_1) | instid1(VALU_DEP_2)
	v_sub_nc_u32_e32 v3, v3, v5
	v_mul_u32_u24_e32 v4, 0xd47, v4
	v_mul_lo_u32 v3, 0xbc8f, v3
	s_delay_alu instid0(VALU_DEP_2) | instskip(SKIP_1) | instid1(VALU_DEP_3)
	v_xor_b32_e32 v5, 0x7fffffff, v4
	v_sub_nc_u32_e32 v6, 0, v4
	v_cmp_lt_u32_e32 vcc_lo, v3, v4
	s_delay_alu instid0(VALU_DEP_2) | instskip(NEXT) | instid1(VALU_DEP_1)
	v_cndmask_b32_e32 v4, v6, v5, vcc_lo
	v_add_nc_u32_e32 v3, v4, v3
	s_delay_alu instid0(VALU_DEP_1) | instskip(NEXT) | instid1(VALU_DEP_1)
	v_mul_hi_u32 v4, 0xbc8f1391, v3
	v_lshrrev_b32_e32 v4, 15, v4
	s_delay_alu instid0(VALU_DEP_1) | instskip(SKIP_1) | instid1(VALU_DEP_2)
	v_mul_u32_u24_e32 v5, 0xadc8, v4
	v_mul_u32_u24_e32 v4, 0xd47, v4
	v_sub_nc_u32_e32 v5, v3, v5
	s_delay_alu instid0(VALU_DEP_2) | instskip(SKIP_1) | instid1(VALU_DEP_3)
	v_xor_b32_e32 v6, 0x7fffffff, v4
	v_add_nc_u32_e32 v3, -1, v3
	v_mul_lo_u32 v5, 0xbc8f, v5
	v_sub_nc_u32_e32 v7, 0, v4
	s_delay_alu instid0(VALU_DEP_2) | instskip(NEXT) | instid1(VALU_DEP_2)
	v_cmp_lt_u32_e32 vcc_lo, v5, v4
	v_cndmask_b32_e32 v4, v7, v6, vcc_lo
	s_delay_alu instid0(VALU_DEP_1) | instskip(NEXT) | instid1(VALU_DEP_1)
	v_add_nc_u32_e32 v5, v4, v5
	v_mul_hi_u32 v4, 0xbc8f1391, v5
	s_delay_alu instid0(VALU_DEP_1) | instskip(NEXT) | instid1(VALU_DEP_1)
	v_lshrrev_b32_e32 v4, 15, v4
	v_mul_u32_u24_e32 v6, 0xadc8, v4
	v_mul_u32_u24_e32 v4, 0xd47, v4
	s_delay_alu instid0(VALU_DEP_2) | instskip(NEXT) | instid1(VALU_DEP_2)
	v_sub_nc_u32_e32 v6, v5, v6
	v_xor_b32_e32 v7, 0x7fffffff, v4
	s_delay_alu instid0(VALU_DEP_2) | instskip(SKIP_1) | instid1(VALU_DEP_2)
	v_mul_lo_u32 v6, 0xbc8f, v6
	v_sub_nc_u32_e32 v8, 0, v4
	v_cmp_lt_u32_e32 vcc_lo, v6, v4
	s_delay_alu instid0(VALU_DEP_2) | instskip(NEXT) | instid1(VALU_DEP_1)
	v_dual_cndmask_b32 v4, v8, v7, vcc_lo :: v_dual_add_f32 v8, 1.0, v2
	v_add_nc_u32_e32 v6, v4, v6
	s_delay_alu instid0(VALU_DEP_1) | instskip(NEXT) | instid1(VALU_DEP_1)
	v_mul_hi_u32 v4, 0xbc8f1391, v6
	v_lshrrev_b32_e32 v4, 15, v4
	s_delay_alu instid0(VALU_DEP_1) | instskip(SKIP_2) | instid1(VALU_DEP_3)
	v_mul_u32_u24_e32 v7, 0xadc8, v4
	v_mul_u32_u24_e32 v9, 0xd47, v4
	v_cvt_f32_u32_e32 v4, v3
	v_sub_nc_u32_e32 v7, v6, v7
	s_delay_alu instid0(VALU_DEP_3) | instskip(SKIP_1) | instid1(VALU_DEP_3)
	v_xor_b32_e32 v3, 0x7fffffff, v9
	v_dual_sub_nc_u32 v10, 0, v9 :: v_dual_add_nc_u32 v6, -1, v6
	v_mul_lo_u32 v7, 0xbc8f, v7
	s_delay_alu instid0(VALU_DEP_2) | instskip(NEXT) | instid1(VALU_DEP_2)
	v_cvt_f32_u32_e32 v6, v6
	v_cmp_lt_u32_e32 vcc_lo, v7, v9
	s_delay_alu instid0(VALU_DEP_4) | instskip(NEXT) | instid1(VALU_DEP_1)
	v_dual_add_nc_u32 v5, -1, v5 :: v_dual_cndmask_b32 v3, v10, v3, vcc_lo
	v_cvt_f32_u32_e32 v5, v5
	s_delay_alu instid0(VALU_DEP_2) | instskip(NEXT) | instid1(VALU_DEP_2)
	v_add_nc_u32_e32 v3, v3, v7
	v_pk_fma_f32 v[4:5], v[4:5], s[2:3], 0 op_sel_hi:[1,0,0]
	s_delay_alu instid0(VALU_DEP_1) | instskip(NEXT) | instid1(VALU_DEP_1)
	v_pk_mul_f32 v[4:5], v[4:5], v[4:5]
	v_dual_add_nc_u32 v7, -1, v3 :: v_dual_add_f32 v9, v4, v5
	s_delay_alu instid0(VALU_DEP_1) | instskip(NEXT) | instid1(VALU_DEP_2)
	v_cvt_f32_u32_e32 v7, v7
	v_cmp_gt_f32_e32 vcc_lo, 0xf800000, v9
	s_delay_alu instid0(VALU_DEP_2) | instskip(SKIP_1) | instid1(SALU_CYCLE_1)
	v_pk_fma_f32 v[4:5], v[6:7], s[2:3], 0 op_sel_hi:[1,0,0]
	s_add_co_i32 s3, s3, -2
	s_cmp_lg_u32 s3, 0
	s_delay_alu instid0(VALU_DEP_1) | instskip(NEXT) | instid1(VALU_DEP_1)
	v_pk_mul_f32 v[4:5], v[4:5], v[4:5]
	v_add_f32_e32 v4, v4, v5
	s_delay_alu instid0(VALU_DEP_1) | instskip(NEXT) | instid1(VALU_DEP_1)
	v_dual_mul_f32 v6, 0x4f800000, v9 :: v_dual_mul_f32 v7, 0x4f800000, v4
	v_cndmask_b32_e32 v6, v9, v6, vcc_lo
	v_cmp_gt_f32_e64 s0, 0xf800000, v4
	s_delay_alu instid0(VALU_DEP_2) | instskip(SKIP_1) | instid1(TRANS32_DEP_1)
	v_sqrt_f32_e32 v5, v6
	v_nop
	v_dual_add_nc_u32 v9, -1, v5 :: v_dual_cndmask_b32 v4, v4, v7, s0
	s_delay_alu instid0(VALU_DEP_1) | instskip(NEXT) | instid1(VALU_DEP_2)
	v_dual_add_nc_u32 v7, 1, v5 :: v_dual_fma_f32 v10, -v9, v5, v6
	v_sqrt_f32_e32 v11, v4
	s_delay_alu instid0(VALU_DEP_1) | instskip(NEXT) | instid1(VALU_DEP_2)
	v_fma_f32 v12, -v7, v5, v6
	v_cmp_ge_f32_e64 s1, 0, v10
	s_delay_alu instid0(TRANS32_DEP_1) | instid1(VALU_DEP_1)
	v_dual_cndmask_b32 v5, v5, v9, s1 :: v_dual_add_nc_u32 v9, -1, v11
	s_delay_alu instid0(VALU_DEP_3) | instskip(NEXT) | instid1(VALU_DEP_1)
	v_cmp_lt_f32_e64 s1, 0, v12
	v_cndmask_b32_e64 v5, v5, v7, s1
	s_delay_alu instid0(VALU_DEP_3) | instskip(NEXT) | instid1(VALU_DEP_1)
	v_dual_add_nc_u32 v7, 1, v11 :: v_dual_fma_f32 v10, -v9, v11, v4
	v_fma_f32 v13, -v7, v11, v4
	s_delay_alu instid0(VALU_DEP_2) | instskip(NEXT) | instid1(VALU_DEP_1)
	v_cmp_ge_f32_e64 s1, 0, v10
	v_cndmask_b32_e64 v9, v11, v9, s1
	v_mul_f32_e32 v12, 0x37800000, v5
	s_delay_alu instid0(VALU_DEP_4) | instskip(NEXT) | instid1(VALU_DEP_1)
	v_cmp_lt_f32_e64 s1, 0, v13
	v_cndmask_b32_e64 v7, v9, v7, s1
	s_delay_alu instid0(VALU_DEP_3) | instskip(SKIP_1) | instid1(VALU_DEP_2)
	v_cndmask_b32_e32 v5, v5, v12, vcc_lo
	v_cmp_class_f32_e64 vcc_lo, v6, 0x260
	v_cndmask_b32_e32 v5, v5, v6, vcc_lo
	s_delay_alu instid0(VALU_DEP_1) | instskip(SKIP_3) | instid1(VALU_DEP_2)
	v_cmp_nge_f32_e32 vcc_lo, 1.0, v5
	v_cndmask_b32_e32 v2, v8, v2, vcc_lo
	v_mul_f32_e32 v6, 0x37800000, v7
	v_cmp_class_f32_e64 vcc_lo, v4, 0x260
	v_cndmask_b32_e64 v5, v7, v6, s0
	s_delay_alu instid0(VALU_DEP_1) | instskip(NEXT) | instid1(VALU_DEP_1)
	v_dual_add_f32 v6, 1.0, v2 :: v_dual_cndmask_b32 v4, v5, v4, vcc_lo
	v_cmp_nge_f32_e32 vcc_lo, 1.0, v4
	s_delay_alu instid0(VALU_DEP_2)
	v_cndmask_b32_e32 v2, v6, v2, vcc_lo
	s_cbranch_scc1 .LBB27_642
; %bb.643:
	s_delay_alu instid0(VALU_DEP_1) | instskip(NEXT) | instid1(VALU_DEP_1)
	v_mul_f32_e32 v2, 4.0, v2
	v_div_scale_f32 v3, null, 0x459c4000, 0x459c4000, v2
	s_delay_alu instid0(VALU_DEP_1) | instskip(SKIP_1) | instid1(TRANS32_DEP_1)
	v_rcp_f32_e32 v4, v3
	v_nop
	v_fma_f32 v5, -v3, v4, 1.0
	s_delay_alu instid0(VALU_DEP_1) | instskip(SKIP_1) | instid1(VALU_DEP_1)
	v_fmac_f32_e32 v4, v5, v4
	v_div_scale_f32 v6, vcc_lo, v2, 0x459c4000, v2
	v_mul_f32_e32 v5, v6, v4
	s_delay_alu instid0(VALU_DEP_1) | instskip(NEXT) | instid1(VALU_DEP_1)
	v_fma_f32 v7, -v3, v5, v6
	v_fmac_f32_e32 v5, v7, v4
	s_delay_alu instid0(VALU_DEP_1) | instskip(NEXT) | instid1(VALU_DEP_1)
	v_dual_fma_f32 v6, -v3, v5, v6 :: v_dual_mov_b32 v3, 0
	v_div_fmas_f32 v6, v6, v4, v5
	s_delay_alu instid0(VALU_DEP_2) | instskip(SKIP_1) | instid1(VALU_DEP_3)
	v_dual_mov_b32 v4, v3 :: v_dual_mov_b32 v5, v3
	v_dual_mov_b32 v8, v3 :: v_dual_mov_b32 v9, v3
	v_div_fixup_f32 v2, v6, 0x459c4000, v2
	v_dual_mov_b32 v6, v3 :: v_dual_mov_b32 v7, v3
	v_dual_mov_b32 v10, v3 :: v_dual_mov_b32 v11, v3
	;; [unrolled: 1-line block ×5, first 2 shown]
.LBB27_644:
	s_or_b32 exec_lo, exec_lo, s10
	v_add_nc_u32_e32 v22, 0x100, v50
	s_delay_alu instid0(VALU_DEP_1)
	v_cmp_lt_u32_e64 s0, v22, v29
	s_and_saveexec_b32 s12, s0
	s_cbranch_execz .LBB27_693
; %bb.645:
	v_dual_add_nc_u32 v3, v30, v22 :: v_dual_mov_b32 v23, 1
	s_mov_b32 s3, 0
	s_mov_b32 s1, exec_lo
	s_delay_alu instid0(VALU_DEP_1) | instskip(NEXT) | instid1(VALU_DEP_1)
	v_mul_lo_u32 v22, 0x1388, v3
	v_cmpx_ne_u32_e32 0, v22
	s_cbranch_execz .LBB27_690
; %bb.646:
	v_mov_b32_e32 v23, 0
	v_mov_b64_e32 v[26:27], 1
	s_mov_b64 s[10:11], 0xbc8f
	s_mov_b64 s[4:5], 0xfffffffd
	;; [unrolled: 1-line block ×3, first 2 shown]
	v_mov_b64_e32 v[24:25], v[22:23]
	s_mov_b64 s[8:9], 0x80000001
	s_mov_b32 s13, 0
	s_branch .LBB27_648
.LBB27_647:                             ;   in Loop: Header=BB27_648 Depth=1
	s_or_b32 exec_lo, exec_lo, s2
	s_mul_u64 s[10:11], s[10:11], s[10:11]
	s_mov_b32 s15, s3
	s_and_b64 s[16:17], s[10:11], s[4:5]
	s_mov_b32 s2, s11
	s_mul_u64 s[20:21], s[16:17], 3
	s_mul_u64 s[22:23], s[2:3], 3
	s_mov_b32 s14, s21
	s_mul_u64 s[16:17], s[16:17], s[8:9]
	s_add_nc_u64 s[14:15], s[22:23], s[14:15]
	v_lshrrev_b64 v[32:33], 1, v[24:25]
	s_and_b64 s[22:23], s[14:15], s[6:7]
	s_mov_b32 s21, s3
	s_add_nc_u64 s[16:17], s[16:17], s[22:23]
	s_mov_b32 s25, s3
	s_mov_b32 s20, s15
	;; [unrolled: 1-line block ×3, first 2 shown]
	s_mul_u64 s[16:17], s[2:3], s[8:9]
	s_add_nc_u64 s[14:15], s[20:21], s[24:25]
	v_cmp_gt_u64_e32 vcc_lo, 2, v[24:25]
	s_add_nc_u64 s[14:15], s[16:17], s[14:15]
	v_mov_b64_e32 v[24:25], v[32:33]
	s_lshr_b64 s[14:15], s[14:15], 30
	s_delay_alu instid0(SALU_CYCLE_1)
	s_mul_u64 s[14:15], s[14:15], 0x7fffffff
	s_or_b32 s13, vcc_lo, s13
	s_sub_nc_u64 s[10:11], s[10:11], s[14:15]
	s_and_not1_b32 exec_lo, exec_lo, s13
	s_cbranch_execz .LBB27_689
.LBB27_648:                             ; =>This Inner Loop Header: Depth=1
	s_delay_alu instid0(VALU_DEP_1) | instskip(SKIP_1) | instid1(VALU_DEP_1)
	v_and_b32_e32 v3, 1, v24
	s_mov_b32 s2, exec_lo
	v_cmpx_eq_u32_e32 1, v3
	s_cbranch_execz .LBB27_647
; %bb.649:                              ;   in Loop: Header=BB27_648 Depth=1
	v_mul_u64_e32 v[26:27], s[10:11], v[26:27]
	s_delay_alu instid0(VALU_DEP_1) | instskip(NEXT) | instid1(VALU_DEP_1)
	v_mov_b32_e32 v22, v26
	v_mul_u64_e32 v[32:33], 5, v[22:23]
	s_delay_alu instid0(VALU_DEP_1) | instskip(NEXT) | instid1(VALU_DEP_1)
	v_mov_b32_e32 v22, v33
	v_mad_nc_u64_u32 v[32:33], v27, 5, v[22:23]
	s_delay_alu instid0(VALU_DEP_1) | instskip(NEXT) | instid1(VALU_DEP_1)
	v_dual_mov_b32 v22, v33 :: v_dual_mov_b32 v33, v23
	v_mad_nc_u64_u32 v[32:33], v26, 2, v[32:33]
	s_delay_alu instid0(VALU_DEP_1) | instskip(NEXT) | instid1(VALU_DEP_1)
	v_dual_mov_b32 v32, v33 :: v_dual_mov_b32 v33, v23
	v_add_nc_u64_e32 v[32:33], v[22:23], v[32:33]
	s_delay_alu instid0(VALU_DEP_1) | instskip(NEXT) | instid1(VALU_DEP_1)
	v_mad_nc_u64_u32 v[32:33], v27, 2, v[32:33]
	v_sub_nc_u64_e32 v[34:35], v[26:27], v[32:33]
	s_delay_alu instid0(VALU_DEP_1) | instskip(NEXT) | instid1(VALU_DEP_1)
	v_lshrrev_b64 v[34:35], 1, v[34:35]
	v_add_nc_u64_e32 v[32:33], v[34:35], v[32:33]
	s_delay_alu instid0(VALU_DEP_1) | instskip(NEXT) | instid1(VALU_DEP_1)
	v_lshrrev_b64 v[32:33], 30, v[32:33]
	v_mul_u64_e32 v[32:33], 0x7fffffff, v[32:33]
	s_delay_alu instid0(VALU_DEP_1)
	v_sub_nc_u64_e32 v[26:27], v[26:27], v[32:33]
	s_branch .LBB27_647
.LBB27_650:
	s_or_b32 exec_lo, exec_lo, s12
	v_add_min_u32_e64 v0, 0x80000001, v4, v4
	s_delay_alu instid0(VALU_DEP_1)
	v_add_min_u32_e64 v1, 0x80000001, v0, v0
.LBB27_651:
	s_or_b32 exec_lo, exec_lo, s11
	v_mov_b32_e32 v0, 0
	s_movk_i32 s3, 0x1388
	s_brev_b32 s2, 12
.LBB27_652:                             ; =>This Inner Loop Header: Depth=1
	v_mul_hi_u32 v2, 0xbc8f1391, v1
	s_delay_alu instid0(VALU_DEP_1) | instskip(NEXT) | instid1(VALU_DEP_1)
	v_lshrrev_b32_e32 v2, 15, v2
	v_mul_u32_u24_e32 v3, 0xadc8, v2
	s_delay_alu instid0(VALU_DEP_1) | instskip(SKIP_1) | instid1(VALU_DEP_2)
	v_sub_nc_u32_e32 v1, v1, v3
	v_mul_u32_u24_e32 v2, 0xd47, v2
	v_mul_lo_u32 v1, 0xbc8f, v1
	s_delay_alu instid0(VALU_DEP_2) | instskip(SKIP_1) | instid1(VALU_DEP_3)
	v_xor_b32_e32 v3, 0x7fffffff, v2
	v_sub_nc_u32_e32 v4, 0, v2
	v_cmp_lt_u32_e32 vcc_lo, v1, v2
	s_delay_alu instid0(VALU_DEP_2) | instskip(NEXT) | instid1(VALU_DEP_1)
	v_cndmask_b32_e32 v2, v4, v3, vcc_lo
	v_add_nc_u32_e32 v1, v2, v1
	s_delay_alu instid0(VALU_DEP_1) | instskip(NEXT) | instid1(VALU_DEP_1)
	v_mul_hi_u32 v2, 0xbc8f1391, v1
	v_lshrrev_b32_e32 v2, 15, v2
	s_delay_alu instid0(VALU_DEP_1) | instskip(SKIP_1) | instid1(VALU_DEP_2)
	v_mul_u32_u24_e32 v3, 0xadc8, v2
	v_mul_u32_u24_e32 v2, 0xd47, v2
	v_sub_nc_u32_e32 v3, v1, v3
	s_delay_alu instid0(VALU_DEP_2) | instskip(SKIP_1) | instid1(VALU_DEP_3)
	v_xor_b32_e32 v4, 0x7fffffff, v2
	v_add_nc_u32_e32 v1, -1, v1
	v_mul_lo_u32 v3, 0xbc8f, v3
	v_sub_nc_u32_e32 v5, 0, v2
	s_delay_alu instid0(VALU_DEP_2) | instskip(NEXT) | instid1(VALU_DEP_2)
	v_cmp_lt_u32_e32 vcc_lo, v3, v2
	v_cndmask_b32_e32 v2, v5, v4, vcc_lo
	s_delay_alu instid0(VALU_DEP_1) | instskip(NEXT) | instid1(VALU_DEP_1)
	v_add_nc_u32_e32 v3, v2, v3
	v_mul_hi_u32 v2, 0xbc8f1391, v3
	s_delay_alu instid0(VALU_DEP_1) | instskip(NEXT) | instid1(VALU_DEP_1)
	v_lshrrev_b32_e32 v2, 15, v2
	v_mul_u32_u24_e32 v4, 0xadc8, v2
	v_mul_u32_u24_e32 v2, 0xd47, v2
	s_delay_alu instid0(VALU_DEP_2) | instskip(NEXT) | instid1(VALU_DEP_2)
	v_sub_nc_u32_e32 v4, v3, v4
	v_xor_b32_e32 v5, 0x7fffffff, v2
	s_delay_alu instid0(VALU_DEP_2) | instskip(SKIP_1) | instid1(VALU_DEP_2)
	v_mul_lo_u32 v4, 0xbc8f, v4
	v_sub_nc_u32_e32 v6, 0, v2
	v_cmp_lt_u32_e32 vcc_lo, v4, v2
	s_delay_alu instid0(VALU_DEP_2) | instskip(NEXT) | instid1(VALU_DEP_1)
	v_dual_cndmask_b32 v2, v6, v5, vcc_lo :: v_dual_add_f32 v6, 1.0, v0
	v_add_nc_u32_e32 v4, v2, v4
	s_delay_alu instid0(VALU_DEP_1) | instskip(NEXT) | instid1(VALU_DEP_1)
	v_mul_hi_u32 v2, 0xbc8f1391, v4
	v_lshrrev_b32_e32 v2, 15, v2
	s_delay_alu instid0(VALU_DEP_1) | instskip(SKIP_2) | instid1(VALU_DEP_3)
	v_mul_u32_u24_e32 v5, 0xadc8, v2
	v_mul_u32_u24_e32 v7, 0xd47, v2
	v_cvt_f32_u32_e32 v2, v1
	v_sub_nc_u32_e32 v5, v4, v5
	s_delay_alu instid0(VALU_DEP_3) | instskip(SKIP_1) | instid1(VALU_DEP_3)
	v_xor_b32_e32 v1, 0x7fffffff, v7
	v_dual_sub_nc_u32 v8, 0, v7 :: v_dual_add_nc_u32 v4, -1, v4
	v_mul_lo_u32 v5, 0xbc8f, v5
	s_delay_alu instid0(VALU_DEP_2) | instskip(NEXT) | instid1(VALU_DEP_2)
	v_cvt_f32_u32_e32 v4, v4
	v_cmp_lt_u32_e32 vcc_lo, v5, v7
	s_delay_alu instid0(VALU_DEP_4) | instskip(NEXT) | instid1(VALU_DEP_1)
	v_dual_add_nc_u32 v3, -1, v3 :: v_dual_cndmask_b32 v1, v8, v1, vcc_lo
	v_cvt_f32_u32_e32 v3, v3
	s_delay_alu instid0(VALU_DEP_2) | instskip(NEXT) | instid1(VALU_DEP_2)
	v_add_nc_u32_e32 v1, v1, v5
	v_pk_fma_f32 v[2:3], v[2:3], s[2:3], 0 op_sel_hi:[1,0,0]
	s_delay_alu instid0(VALU_DEP_1) | instskip(NEXT) | instid1(VALU_DEP_1)
	v_pk_mul_f32 v[2:3], v[2:3], v[2:3]
	v_dual_add_nc_u32 v5, -1, v1 :: v_dual_add_f32 v7, v2, v3
	s_delay_alu instid0(VALU_DEP_1) | instskip(NEXT) | instid1(VALU_DEP_2)
	v_cvt_f32_u32_e32 v5, v5
	v_cmp_gt_f32_e32 vcc_lo, 0xf800000, v7
	s_delay_alu instid0(VALU_DEP_2) | instskip(SKIP_1) | instid1(SALU_CYCLE_1)
	v_pk_fma_f32 v[2:3], v[4:5], s[2:3], 0 op_sel_hi:[1,0,0]
	s_add_co_i32 s3, s3, -2
	s_cmp_lg_u32 s3, 0
	s_delay_alu instid0(VALU_DEP_1) | instskip(NEXT) | instid1(VALU_DEP_1)
	v_pk_mul_f32 v[2:3], v[2:3], v[2:3]
	v_add_f32_e32 v2, v2, v3
	s_delay_alu instid0(VALU_DEP_1) | instskip(NEXT) | instid1(VALU_DEP_1)
	v_dual_mul_f32 v4, 0x4f800000, v7 :: v_dual_mul_f32 v5, 0x4f800000, v2
	v_cndmask_b32_e32 v4, v7, v4, vcc_lo
	v_cmp_gt_f32_e64 s0, 0xf800000, v2
	s_delay_alu instid0(VALU_DEP_2) | instskip(SKIP_1) | instid1(TRANS32_DEP_1)
	v_sqrt_f32_e32 v3, v4
	v_nop
	v_dual_add_nc_u32 v7, -1, v3 :: v_dual_cndmask_b32 v2, v2, v5, s0
	s_delay_alu instid0(VALU_DEP_1) | instskip(NEXT) | instid1(VALU_DEP_2)
	v_dual_add_nc_u32 v5, 1, v3 :: v_dual_fma_f32 v8, -v7, v3, v4
	v_sqrt_f32_e32 v9, v2
	s_delay_alu instid0(VALU_DEP_1) | instskip(NEXT) | instid1(VALU_DEP_2)
	v_fma_f32 v10, -v5, v3, v4
	v_cmp_ge_f32_e64 s1, 0, v8
	s_delay_alu instid0(TRANS32_DEP_1) | instid1(VALU_DEP_1)
	v_dual_cndmask_b32 v3, v3, v7, s1 :: v_dual_add_nc_u32 v7, -1, v9
	s_delay_alu instid0(VALU_DEP_3) | instskip(NEXT) | instid1(VALU_DEP_1)
	v_cmp_lt_f32_e64 s1, 0, v10
	v_cndmask_b32_e64 v3, v3, v5, s1
	s_delay_alu instid0(VALU_DEP_3) | instskip(NEXT) | instid1(VALU_DEP_1)
	v_dual_add_nc_u32 v5, 1, v9 :: v_dual_fma_f32 v8, -v7, v9, v2
	v_fma_f32 v11, -v5, v9, v2
	s_delay_alu instid0(VALU_DEP_2) | instskip(NEXT) | instid1(VALU_DEP_1)
	v_cmp_ge_f32_e64 s1, 0, v8
	v_cndmask_b32_e64 v7, v9, v7, s1
	v_mul_f32_e32 v10, 0x37800000, v3
	s_delay_alu instid0(VALU_DEP_4) | instskip(NEXT) | instid1(VALU_DEP_1)
	v_cmp_lt_f32_e64 s1, 0, v11
	v_cndmask_b32_e64 v5, v7, v5, s1
	s_delay_alu instid0(VALU_DEP_3) | instskip(SKIP_1) | instid1(VALU_DEP_2)
	v_cndmask_b32_e32 v3, v3, v10, vcc_lo
	v_cmp_class_f32_e64 vcc_lo, v4, 0x260
	v_cndmask_b32_e32 v3, v3, v4, vcc_lo
	s_delay_alu instid0(VALU_DEP_1) | instskip(SKIP_3) | instid1(VALU_DEP_2)
	v_cmp_nge_f32_e32 vcc_lo, 1.0, v3
	v_cndmask_b32_e32 v0, v6, v0, vcc_lo
	v_mul_f32_e32 v4, 0x37800000, v5
	v_cmp_class_f32_e64 vcc_lo, v2, 0x260
	v_cndmask_b32_e64 v3, v5, v4, s0
	s_delay_alu instid0(VALU_DEP_1) | instskip(NEXT) | instid1(VALU_DEP_1)
	v_dual_add_f32 v4, 1.0, v0 :: v_dual_cndmask_b32 v2, v3, v2, vcc_lo
	v_cmp_nge_f32_e32 vcc_lo, 1.0, v2
	s_delay_alu instid0(VALU_DEP_2)
	v_cndmask_b32_e32 v0, v4, v0, vcc_lo
	s_cbranch_scc1 .LBB27_652
; %bb.653:
	s_delay_alu instid0(VALU_DEP_1) | instskip(NEXT) | instid1(VALU_DEP_1)
	v_mul_f32_e32 v0, 4.0, v0
	v_div_scale_f32 v1, null, 0x459c4000, 0x459c4000, v0
	s_delay_alu instid0(VALU_DEP_1) | instskip(SKIP_1) | instid1(TRANS32_DEP_1)
	v_rcp_f32_e32 v2, v1
	v_nop
	v_fma_f32 v3, -v1, v2, 1.0
	s_delay_alu instid0(VALU_DEP_1) | instskip(SKIP_1) | instid1(VALU_DEP_1)
	v_fmac_f32_e32 v2, v3, v2
	v_div_scale_f32 v4, vcc_lo, v0, 0x459c4000, v0
	v_mul_f32_e32 v3, v4, v2
	s_delay_alu instid0(VALU_DEP_1) | instskip(NEXT) | instid1(VALU_DEP_1)
	v_fma_f32 v5, -v1, v3, v4
	v_fmac_f32_e32 v3, v5, v2
	s_delay_alu instid0(VALU_DEP_1) | instskip(NEXT) | instid1(VALU_DEP_1)
	v_fma_f32 v1, -v1, v3, v4
	v_div_fmas_f32 v2, v1, v2, v3
	v_mov_b32_e32 v1, 0
	s_delay_alu instid0(VALU_DEP_2) | instskip(NEXT) | instid1(VALU_DEP_2)
	v_div_fixup_f32 v0, v2, 0x459c4000, v0
	v_dual_mov_b32 v2, v1 :: v_dual_mov_b32 v3, v1
	v_dual_mov_b32 v4, v1 :: v_dual_mov_b32 v5, v1
	;; [unrolled: 1-line block ×15, first 2 shown]
.LBB27_654:
	s_or_b32 exec_lo, exec_lo, s10
	v_add_nc_u32_e32 v36, 0x100, v50
	s_delay_alu instid0(VALU_DEP_1)
	v_cmp_lt_u32_e64 s0, v36, v52
	s_and_saveexec_b32 s12, s0
	s_cbranch_execz .LBB27_703
; %bb.655:
	v_dual_add_nc_u32 v1, v53, v36 :: v_dual_mov_b32 v37, 1
	s_mov_b32 s3, 0
	s_mov_b32 s1, exec_lo
	s_delay_alu instid0(VALU_DEP_1) | instskip(NEXT) | instid1(VALU_DEP_1)
	v_mul_lo_u32 v36, 0x1388, v1
	v_cmpx_ne_u32_e32 0, v36
	s_cbranch_execz .LBB27_700
; %bb.656:
	v_mov_b32_e32 v37, 0
	v_mov_b64_e32 v[48:49], 1
	s_mov_b64 s[10:11], 0xbc8f
	s_mov_b64 s[4:5], 0xfffffffd
	;; [unrolled: 1-line block ×3, first 2 shown]
	v_mov_b64_e32 v[38:39], v[36:37]
	s_mov_b64 s[8:9], 0x80000001
	s_mov_b32 s13, 0
	s_branch .LBB27_658
.LBB27_657:                             ;   in Loop: Header=BB27_658 Depth=1
	s_or_b32 exec_lo, exec_lo, s2
	s_mul_u64 s[10:11], s[10:11], s[10:11]
	s_mov_b32 s15, s3
	s_and_b64 s[16:17], s[10:11], s[4:5]
	s_mov_b32 s2, s11
	s_mul_u64 s[18:19], s[16:17], 3
	s_mul_u64 s[20:21], s[2:3], 3
	s_mov_b32 s14, s19
	s_mul_u64 s[16:17], s[16:17], s[8:9]
	s_add_nc_u64 s[14:15], s[20:21], s[14:15]
	v_lshrrev_b64 v[54:55], 1, v[38:39]
	s_and_b64 s[20:21], s[14:15], s[6:7]
	s_mov_b32 s19, s3
	s_add_nc_u64 s[16:17], s[16:17], s[20:21]
	s_mov_b32 s23, s3
	s_mov_b32 s18, s15
	;; [unrolled: 1-line block ×3, first 2 shown]
	s_mul_u64 s[16:17], s[2:3], s[8:9]
	s_add_nc_u64 s[14:15], s[18:19], s[22:23]
	v_cmp_gt_u64_e32 vcc_lo, 2, v[38:39]
	s_add_nc_u64 s[14:15], s[16:17], s[14:15]
	v_mov_b64_e32 v[38:39], v[54:55]
	s_lshr_b64 s[14:15], s[14:15], 30
	s_delay_alu instid0(SALU_CYCLE_1)
	s_mul_u64 s[14:15], s[14:15], 0x7fffffff
	s_or_b32 s13, vcc_lo, s13
	s_sub_nc_u64 s[10:11], s[10:11], s[14:15]
	s_and_not1_b32 exec_lo, exec_lo, s13
	s_cbranch_execz .LBB27_699
.LBB27_658:                             ; =>This Inner Loop Header: Depth=1
	s_delay_alu instid0(VALU_DEP_1) | instskip(SKIP_1) | instid1(VALU_DEP_1)
	v_and_b32_e32 v1, 1, v38
	s_mov_b32 s2, exec_lo
	v_cmpx_eq_u32_e32 1, v1
	s_cbranch_execz .LBB27_657
; %bb.659:                              ;   in Loop: Header=BB27_658 Depth=1
	v_mul_u64_e32 v[48:49], s[10:11], v[48:49]
	s_delay_alu instid0(VALU_DEP_1) | instskip(NEXT) | instid1(VALU_DEP_1)
	v_mov_b32_e32 v36, v48
	v_mul_u64_e32 v[54:55], 5, v[36:37]
	s_delay_alu instid0(VALU_DEP_1) | instskip(NEXT) | instid1(VALU_DEP_1)
	v_mov_b32_e32 v36, v55
	v_mad_nc_u64_u32 v[54:55], v49, 5, v[36:37]
	s_delay_alu instid0(VALU_DEP_1) | instskip(NEXT) | instid1(VALU_DEP_1)
	v_dual_mov_b32 v36, v55 :: v_dual_mov_b32 v55, v37
	v_mad_nc_u64_u32 v[54:55], v48, 2, v[54:55]
	s_delay_alu instid0(VALU_DEP_1) | instskip(NEXT) | instid1(VALU_DEP_1)
	v_dual_mov_b32 v54, v55 :: v_dual_mov_b32 v55, v37
	v_add_nc_u64_e32 v[54:55], v[36:37], v[54:55]
	s_delay_alu instid0(VALU_DEP_1) | instskip(NEXT) | instid1(VALU_DEP_1)
	v_mad_nc_u64_u32 v[54:55], v49, 2, v[54:55]
	v_sub_nc_u64_e32 v[64:65], v[48:49], v[54:55]
	s_delay_alu instid0(VALU_DEP_1) | instskip(NEXT) | instid1(VALU_DEP_1)
	v_lshrrev_b64 v[64:65], 1, v[64:65]
	v_add_nc_u64_e32 v[54:55], v[64:65], v[54:55]
	s_delay_alu instid0(VALU_DEP_1) | instskip(NEXT) | instid1(VALU_DEP_1)
	v_lshrrev_b64 v[54:55], 30, v[54:55]
	v_mul_u64_e32 v[54:55], 0x7fffffff, v[54:55]
	s_delay_alu instid0(VALU_DEP_1)
	v_sub_nc_u64_e32 v[48:49], v[48:49], v[54:55]
	s_branch .LBB27_657
.LBB27_660:
	s_or_b32 exec_lo, exec_lo, s17
	v_add_min_u32_e64 v7, 0x80000001, v12, v12
	s_delay_alu instid0(VALU_DEP_1)
	v_add_min_u32_e64 v9, 0x80000001, v7, v7
.LBB27_661:
	s_or_b32 exec_lo, exec_lo, s1
	v_mov_b32_e32 v7, 0
	s_movk_i32 s3, 0x1388
	s_brev_b32 s6, 12
.LBB27_662:                             ; =>This Inner Loop Header: Depth=1
	v_mul_hi_u32 v8, 0xbc8f1391, v9
	s_add_co_i32 s3, s3, -2
	s_delay_alu instid0(VALU_DEP_2) | instskip(SKIP_1) | instid1(VALU_DEP_2)
	v_add_f32_e32 v16, 1.0, v7
	s_cmp_lg_u32 s3, 0
	v_lshrrev_b32_e32 v8, 15, v8
	s_delay_alu instid0(VALU_DEP_1) | instskip(NEXT) | instid1(VALU_DEP_1)
	v_mul_u32_u24_e32 v10, 0xadc8, v8
	v_sub_nc_u32_e32 v9, v9, v10
	v_mul_u32_u24_e32 v8, 0xd47, v8
	s_delay_alu instid0(VALU_DEP_2) | instskip(NEXT) | instid1(VALU_DEP_2)
	v_mul_lo_u32 v9, 0xbc8f, v9
	v_xor_b32_e32 v10, 0x7fffffff, v8
	v_sub_nc_u32_e32 v11, 0, v8
	s_delay_alu instid0(VALU_DEP_3) | instskip(NEXT) | instid1(VALU_DEP_2)
	v_cmp_lt_u32_e32 vcc_lo, v9, v8
	v_cndmask_b32_e32 v8, v11, v10, vcc_lo
	s_delay_alu instid0(VALU_DEP_1) | instskip(NEXT) | instid1(VALU_DEP_1)
	v_add_nc_u32_e32 v8, v8, v9
	v_mul_hi_u32 v9, 0xbc8f1391, v8
	s_delay_alu instid0(VALU_DEP_1) | instskip(NEXT) | instid1(VALU_DEP_1)
	v_lshrrev_b32_e32 v9, 15, v9
	v_mul_u32_u24_e32 v10, 0xadc8, v9
	v_mul_u32_u24_e32 v9, 0xd47, v9
	s_delay_alu instid0(VALU_DEP_1) | instskip(SKIP_2) | instid1(VALU_DEP_3)
	v_dual_sub_nc_u32 v10, v8, v10 :: v_dual_sub_nc_u32 v12, 0, v9
	v_xor_b32_e32 v11, 0x7fffffff, v9
	v_add_nc_u32_e32 v8, -1, v8
	v_mul_lo_u32 v10, 0xbc8f, v10
	s_delay_alu instid0(VALU_DEP_1) | instskip(NEXT) | instid1(VALU_DEP_4)
	v_cmp_lt_u32_e32 vcc_lo, v10, v9
	v_cndmask_b32_e32 v9, v12, v11, vcc_lo
	s_delay_alu instid0(VALU_DEP_1) | instskip(NEXT) | instid1(VALU_DEP_1)
	v_add_nc_u32_e32 v9, v9, v10
	v_mul_hi_u32 v10, 0xbc8f1391, v9
	s_delay_alu instid0(VALU_DEP_1) | instskip(NEXT) | instid1(VALU_DEP_1)
	v_lshrrev_b32_e32 v10, 15, v10
	v_mul_u32_u24_e32 v11, 0xadc8, v10
	v_mul_u32_u24_e32 v10, 0xd47, v10
	s_delay_alu instid0(VALU_DEP_1) | instskip(SKIP_2) | instid1(VALU_DEP_3)
	v_dual_sub_nc_u32 v13, 0, v10 :: v_dual_sub_nc_u32 v11, v9, v11
	v_xor_b32_e32 v12, 0x7fffffff, v10
	v_add_nc_u32_e32 v9, -1, v9
	v_mul_lo_u32 v11, 0xbc8f, v11
	s_delay_alu instid0(VALU_DEP_1) | instskip(NEXT) | instid1(VALU_DEP_4)
	v_cmp_lt_u32_e32 vcc_lo, v11, v10
	v_cndmask_b32_e32 v10, v13, v12, vcc_lo
	s_delay_alu instid0(VALU_DEP_1) | instskip(NEXT) | instid1(VALU_DEP_1)
	v_add_nc_u32_e32 v12, v10, v11
	v_mul_hi_u32 v10, 0xbc8f1391, v12
	s_delay_alu instid0(VALU_DEP_1) | instskip(NEXT) | instid1(VALU_DEP_1)
	v_lshrrev_b32_e32 v10, 15, v10
	v_mul_u32_u24_e32 v11, 0xadc8, v10
	s_delay_alu instid0(VALU_DEP_1) | instskip(NEXT) | instid1(VALU_DEP_1)
	v_sub_nc_u32_e32 v11, v12, v11
	v_mul_lo_u32 v13, 0xbc8f, v11
	v_mul_u32_u24_e32 v11, 0xd47, v10
	v_cvt_f32_u32_e32 v10, v8
	s_delay_alu instid0(VALU_DEP_2) | instskip(SKIP_3) | instid1(VALU_DEP_3)
	v_xor_b32_e32 v8, 0x7fffffff, v11
	v_sub_nc_u32_e32 v17, 0, v11
	v_cmp_lt_u32_e32 vcc_lo, v13, v11
	v_cvt_f32_u32_e32 v11, v9
	v_cndmask_b32_e32 v8, v17, v8, vcc_lo
	s_delay_alu instid0(VALU_DEP_2) | instskip(NEXT) | instid1(VALU_DEP_2)
	v_pk_fma_f32 v[10:11], v[10:11], s[6:7], 0 op_sel_hi:[1,0,0]
	v_dual_add_nc_u32 v9, v8, v13 :: v_dual_add_nc_u32 v8, -1, v12
	s_delay_alu instid0(VALU_DEP_2) | instskip(NEXT) | instid1(VALU_DEP_2)
	v_pk_mul_f32 v[10:11], v[10:11], v[10:11]
	v_add_nc_u32_e32 v13, -1, v9
	s_delay_alu instid0(VALU_DEP_3) | instskip(NEXT) | instid1(VALU_DEP_3)
	v_cvt_f32_u32_e32 v12, v8
	v_add_f32_e32 v8, v10, v11
	s_delay_alu instid0(VALU_DEP_3) | instskip(NEXT) | instid1(VALU_DEP_2)
	v_cvt_f32_u32_e32 v13, v13
	v_cmp_gt_f32_e32 vcc_lo, 0xf800000, v8
	s_delay_alu instid0(VALU_DEP_2) | instskip(SKIP_1) | instid1(VALU_DEP_2)
	v_pk_fma_f32 v[10:11], v[12:13], s[6:7], 0 op_sel_hi:[1,0,0]
	v_mul_f32_e32 v12, 0x4f800000, v8
	v_pk_mul_f32 v[10:11], v[10:11], v[10:11]
	s_delay_alu instid0(VALU_DEP_1) | instskip(NEXT) | instid1(VALU_DEP_1)
	v_add_f32_e32 v10, v10, v11
	v_cmp_gt_f32_e64 s1, 0xf800000, v10
	s_delay_alu instid0(VALU_DEP_4) | instskip(SKIP_1) | instid1(VALU_DEP_1)
	v_cndmask_b32_e32 v8, v8, v12, vcc_lo
	v_mul_f32_e32 v12, 0x4f800000, v10
	v_cndmask_b32_e64 v10, v10, v12, s1
	s_delay_alu instid0(VALU_DEP_3) | instskip(NEXT) | instid1(VALU_DEP_1)
	v_sqrt_f32_e32 v11, v8
	v_sqrt_f32_e32 v18, v10
	s_delay_alu instid0(TRANS32_DEP_2) | instskip(NEXT) | instid1(VALU_DEP_1)
	v_dual_add_nc_u32 v13, -1, v11 :: v_dual_add_nc_u32 v12, 1, v11
	v_fma_f32 v17, -v13, v11, v8
	s_delay_alu instid0(VALU_DEP_1) | instskip(NEXT) | instid1(VALU_DEP_1)
	v_cmp_ge_f32_e64 s2, 0, v17
	v_dual_fma_f32 v19, -v12, v11, v8 :: v_dual_cndmask_b32 v11, v11, v13, s2
	s_delay_alu instid0(VALU_DEP_1)
	v_cmp_lt_f32_e64 s2, 0, v19
	s_delay_alu instid0(TRANS32_DEP_1) | instid1(VALU_DEP_1)
	v_dual_add_nc_u32 v13, -1, v18 :: v_dual_cndmask_b32 v11, v11, v12, s2
	s_delay_alu instid0(VALU_DEP_1) | instskip(NEXT) | instid1(VALU_DEP_2)
	v_dual_add_nc_u32 v12, 1, v18 :: v_dual_fma_f32 v17, -v13, v18, v10
	v_mul_f32_e32 v19, 0x37800000, v11
	s_delay_alu instid0(VALU_DEP_2) | instskip(NEXT) | instid1(VALU_DEP_3)
	v_fma_f32 v20, -v12, v18, v10
	v_cmp_ge_f32_e64 s2, 0, v17
	s_delay_alu instid0(VALU_DEP_3) | instskip(SKIP_1) | instid1(VALU_DEP_2)
	v_cndmask_b32_e32 v11, v11, v19, vcc_lo
	v_cmp_class_f32_e64 vcc_lo, v8, 0x260
	v_cndmask_b32_e32 v8, v11, v8, vcc_lo
	s_delay_alu instid0(VALU_DEP_1) | instskip(SKIP_4) | instid1(VALU_DEP_3)
	v_cmp_nge_f32_e32 vcc_lo, 1.0, v8
	v_cndmask_b32_e64 v13, v18, v13, s2
	v_cmp_lt_f32_e64 s2, 0, v20
	v_cndmask_b32_e32 v7, v16, v7, vcc_lo
	v_cmp_class_f32_e64 vcc_lo, v10, 0x260
	v_cndmask_b32_e64 v12, v13, v12, s2
	s_delay_alu instid0(VALU_DEP_1) | instskip(NEXT) | instid1(VALU_DEP_1)
	v_mul_f32_e32 v11, 0x37800000, v12
	v_cndmask_b32_e64 v8, v12, v11, s1
	s_delay_alu instid0(VALU_DEP_1) | instskip(NEXT) | instid1(VALU_DEP_1)
	v_dual_add_f32 v11, 1.0, v7 :: v_dual_cndmask_b32 v8, v8, v10
	v_cmp_nge_f32_e32 vcc_lo, 1.0, v8
	s_delay_alu instid0(VALU_DEP_2)
	v_cndmask_b32_e32 v7, v11, v7, vcc_lo
	s_cbranch_scc1 .LBB27_662
; %bb.663:
	s_delay_alu instid0(VALU_DEP_1) | instskip(NEXT) | instid1(VALU_DEP_1)
	v_mul_f32_e32 v7, 4.0, v7
	v_div_scale_f32 v8, null, 0x459c4000, 0x459c4000, v7
	s_delay_alu instid0(VALU_DEP_1) | instskip(SKIP_1) | instid1(TRANS32_DEP_1)
	v_rcp_f32_e32 v9, v8
	v_nop
	v_fma_f32 v10, -v8, v9, 1.0
	s_delay_alu instid0(VALU_DEP_1) | instskip(SKIP_1) | instid1(VALU_DEP_1)
	v_fmac_f32_e32 v9, v10, v9
	v_div_scale_f32 v10, vcc_lo, v7, 0x459c4000, v7
	v_mul_f32_e32 v11, v10, v9
	s_delay_alu instid0(VALU_DEP_1) | instskip(NEXT) | instid1(VALU_DEP_1)
	v_fma_f32 v12, -v8, v11, v10
	v_fmac_f32_e32 v11, v12, v9
	s_delay_alu instid0(VALU_DEP_1) | instskip(NEXT) | instid1(VALU_DEP_1)
	v_fma_f32 v8, -v8, v11, v10
	v_div_fmas_f32 v8, v8, v9, v11
	s_delay_alu instid0(VALU_DEP_1)
	v_div_fixup_f32 v7, v8, 0x459c4000, v7
.LBB27_664:
	s_or_b32 exec_lo, exec_lo, s16
	v_mbcnt_lo_u32_b32 v8, -1, 0
	s_delay_alu instid0(VALU_DEP_2) | instskip(SKIP_1) | instid1(VALU_DEP_3)
	v_add_f32_e32 v7, v7, v6
	v_and_b32_e32 v10, 0x3e0, v50
	v_cmp_ne_u32_e32 vcc_lo, 31, v8
	v_dual_add_nc_u32 v12, 1, v8 :: v_dual_add_nc_u32 v13, 2, v8
	v_add_co_ci_u32_e64 v9, null, 0, v8, vcc_lo
	v_cndmask_b32_e64 v6, v6, v7, s0
	v_cmp_gt_u32_e32 vcc_lo, 30, v8
	v_cmp_gt_u32_e64 s0, 28, v8
	s_delay_alu instid0(VALU_DEP_4) | instskip(SKIP_4) | instid1(VALU_DEP_2)
	v_lshlrev_b32_e32 v7, 2, v9
	v_cndmask_b32_e64 v11, 0, 2, vcc_lo
	ds_bpermute_b32 v9, v7, v6
	v_min_u32_e32 v7, 0x100, v15
	v_add_lshl_u32 v11, v11, v8, 2
	v_sub_nc_u32_e64 v10, v7, v10 clamp
	s_delay_alu instid0(VALU_DEP_1) | instskip(SKIP_3) | instid1(VALU_DEP_3)
	v_cmp_lt_u32_e32 vcc_lo, v12, v10
	v_cndmask_b32_e64 v12, 0, 4, s0
	v_cmp_lt_u32_e64 s0, v13, v10
	v_add_nc_u32_e32 v13, 4, v8
	v_add_lshl_u32 v12, v12, v8, 2
	s_wait_dscnt 0x0
	v_add_f32_e32 v9, v6, v9
	s_delay_alu instid0(VALU_DEP_1) | instskip(SKIP_3) | instid1(VALU_DEP_1)
	v_cndmask_b32_e32 v9, v6, v9, vcc_lo
	ds_bpermute_b32 v11, v11, v9
	s_wait_dscnt 0x0
	v_add_f32_e32 v11, v9, v11
	v_cndmask_b32_e64 v9, v9, v11, s0
	v_cmp_gt_u32_e64 s0, 24, v8
	ds_bpermute_b32 v11, v12, v9
	v_cndmask_b32_e64 v12, 0, 8, s0
	v_cmp_lt_u32_e64 s0, v13, v10
	v_add_nc_u32_e32 v13, 8, v8
	s_delay_alu instid0(VALU_DEP_3) | instskip(SKIP_2) | instid1(VALU_DEP_1)
	v_add_lshl_u32 v12, v12, v8, 2
	s_wait_dscnt 0x0
	v_add_f32_e32 v11, v9, v11
	v_cndmask_b32_e64 v11, v9, v11, s0
	v_cmp_lt_u32_e64 s0, v13, v10
	v_dual_add_nc_u32 v13, 16, v8 :: v_dual_lshlrev_b32 v9, 2, v8
	ds_bpermute_b32 v12, v12, v11
	s_wait_dscnt 0x0
	v_dual_add_f32 v12, v11, v12 :: v_dual_bitop2_b32 v15, 64, v9 bitop3:0x54
	s_delay_alu instid0(VALU_DEP_1) | instskip(SKIP_4) | instid1(VALU_DEP_1)
	v_cndmask_b32_e64 v11, v11, v12, s0
	v_cmp_lt_u32_e64 s0, v13, v10
	ds_bpermute_b32 v12, v15, v11
	s_wait_dscnt 0x0
	v_add_f32_e32 v12, v11, v12
	v_cndmask_b32_e64 v10, v11, v12, s0
	s_mov_b32 s0, exec_lo
	s_delay_alu instid0(VALU_DEP_1)
	v_cndmask_b32_e32 v6, v6, v10, vcc_lo
	v_cmpx_eq_u32_e32 0, v8
; %bb.665:
	v_lshrrev_b32_e32 v10, 3, v50
	s_delay_alu instid0(VALU_DEP_1)
	v_and_b32_e32 v10, 0x7c, v10
	ds_store_b32 v10, v6 offset:192
; %bb.666:
	s_or_b32 exec_lo, exec_lo, s0
	s_delay_alu instid0(SALU_CYCLE_1)
	s_mov_b32 s1, exec_lo
	s_wait_storecnt 0x0
	s_wait_loadcnt_dscnt 0x0
	s_barrier_signal -1
	s_barrier_wait -1
	v_cmpx_gt_u32_e32 8, v50
	s_cbranch_execz .LBB27_668
; %bb.667:
	ds_load_b32 v6, v9 offset:192
	v_and_b32_e32 v10, 7, v8
	v_or_b32_e32 v9, 16, v9
	s_delay_alu instid0(VALU_DEP_2) | instskip(SKIP_1) | instid1(VALU_DEP_1)
	v_cmp_ne_u32_e32 vcc_lo, 7, v10
	v_add_co_ci_u32_e64 v11, null, 0, v8, vcc_lo
	v_lshlrev_b32_e32 v11, 2, v11
	v_dual_add_nc_u32 v7, 31, v7 :: v_dual_add_nc_u32 v13, 1, v10
	v_cmp_gt_u32_e32 vcc_lo, 6, v10
	s_wait_dscnt 0x0
	ds_bpermute_b32 v11, v11, v6
	v_lshrrev_b32_e32 v7, 5, v7
	v_cndmask_b32_e64 v12, 0, 2, vcc_lo
	s_delay_alu instid0(VALU_DEP_1) | instskip(SKIP_1) | instid1(VALU_DEP_4)
	v_add_lshl_u32 v8, v12, v8, 2
	v_add_nc_u32_e32 v12, 2, v10
	v_cmp_lt_u32_e32 vcc_lo, v13, v7
	v_add_nc_u32_e32 v10, 4, v10
	s_delay_alu instid0(VALU_DEP_3) | instskip(SKIP_2) | instid1(VALU_DEP_1)
	v_cmp_lt_u32_e64 s0, v12, v7
	s_wait_dscnt 0x0
	v_add_f32_e32 v11, v6, v11
	v_cndmask_b32_e32 v11, v6, v11, vcc_lo
	ds_bpermute_b32 v8, v8, v11
	s_wait_dscnt 0x0
	v_add_f32_e32 v8, v11, v8
	s_delay_alu instid0(VALU_DEP_1) | instskip(SKIP_4) | instid1(VALU_DEP_1)
	v_cndmask_b32_e64 v8, v11, v8, s0
	v_cmp_lt_u32_e64 s0, v10, v7
	ds_bpermute_b32 v9, v9, v8
	s_wait_dscnt 0x0
	v_add_f32_e32 v9, v8, v9
	v_cndmask_b32_e64 v7, v8, v9, s0
	s_delay_alu instid0(VALU_DEP_1)
	v_cndmask_b32_e32 v6, v6, v7, vcc_lo
.LBB27_668:
	s_or_b32 exec_lo, exec_lo, s1
	s_delay_alu instid0(SALU_CYCLE_1)
	s_or_b32 exec_lo, exec_lo, s15
	v_cmp_eq_u32_e32 vcc_lo, 0, v50
	s_and_b32 exec_lo, exec_lo, vcc_lo
	s_cbranch_execnz .LBB27_9
	s_branch .LBB27_10
.LBB27_669:
	s_or_b32 exec_lo, exec_lo, s15
	v_add_min_u32_e64 v5, 0x80000001, v14, v14
	s_delay_alu instid0(VALU_DEP_1)
	v_add_min_u32_e64 v11, 0x80000001, v5, v5
.LBB27_670:
	s_or_b32 exec_lo, exec_lo, s1
	v_mov_b32_e32 v5, 0
	s_movk_i32 s3, 0x1388
	s_brev_b32 s4, 12
.LBB27_671:                             ; =>This Inner Loop Header: Depth=1
	v_mul_hi_u32 v10, 0xbc8f1391, v11
	s_add_co_i32 s3, s3, -2
	s_delay_alu instid0(VALU_DEP_2) | instskip(SKIP_1) | instid1(VALU_DEP_2)
	v_add_f32_e32 v19, 1.0, v5
	s_cmp_lg_u32 s3, 0
	v_lshrrev_b32_e32 v10, 15, v10
	s_delay_alu instid0(VALU_DEP_1) | instskip(NEXT) | instid1(VALU_DEP_1)
	v_mul_u32_u24_e32 v12, 0xadc8, v10
	v_sub_nc_u32_e32 v11, v11, v12
	v_mul_u32_u24_e32 v10, 0xd47, v10
	s_delay_alu instid0(VALU_DEP_2) | instskip(NEXT) | instid1(VALU_DEP_2)
	v_mul_lo_u32 v11, 0xbc8f, v11
	v_xor_b32_e32 v12, 0x7fffffff, v10
	v_sub_nc_u32_e32 v13, 0, v10
	s_delay_alu instid0(VALU_DEP_3) | instskip(NEXT) | instid1(VALU_DEP_2)
	v_cmp_lt_u32_e32 vcc_lo, v11, v10
	v_cndmask_b32_e32 v10, v13, v12, vcc_lo
	s_delay_alu instid0(VALU_DEP_1) | instskip(NEXT) | instid1(VALU_DEP_1)
	v_add_nc_u32_e32 v10, v10, v11
	v_mul_hi_u32 v11, 0xbc8f1391, v10
	s_delay_alu instid0(VALU_DEP_1) | instskip(NEXT) | instid1(VALU_DEP_1)
	v_lshrrev_b32_e32 v11, 15, v11
	v_mul_u32_u24_e32 v12, 0xadc8, v11
	v_mul_u32_u24_e32 v11, 0xd47, v11
	s_delay_alu instid0(VALU_DEP_1) | instskip(SKIP_2) | instid1(VALU_DEP_3)
	v_dual_sub_nc_u32 v12, v10, v12 :: v_dual_sub_nc_u32 v14, 0, v11
	v_xor_b32_e32 v13, 0x7fffffff, v11
	v_add_nc_u32_e32 v10, -1, v10
	v_mul_lo_u32 v12, 0xbc8f, v12
	s_delay_alu instid0(VALU_DEP_1) | instskip(NEXT) | instid1(VALU_DEP_4)
	v_cmp_lt_u32_e32 vcc_lo, v12, v11
	v_cndmask_b32_e32 v11, v14, v13, vcc_lo
	s_delay_alu instid0(VALU_DEP_1) | instskip(NEXT) | instid1(VALU_DEP_1)
	v_add_nc_u32_e32 v11, v11, v12
	v_mul_hi_u32 v12, 0xbc8f1391, v11
	s_delay_alu instid0(VALU_DEP_1) | instskip(NEXT) | instid1(VALU_DEP_1)
	v_lshrrev_b32_e32 v12, 15, v12
	v_mul_u32_u24_e32 v13, 0xadc8, v12
	v_mul_u32_u24_e32 v12, 0xd47, v12
	s_delay_alu instid0(VALU_DEP_1) | instskip(SKIP_2) | instid1(VALU_DEP_3)
	v_dual_sub_nc_u32 v15, 0, v12 :: v_dual_sub_nc_u32 v13, v11, v13
	v_xor_b32_e32 v14, 0x7fffffff, v12
	v_add_nc_u32_e32 v11, -1, v11
	v_mul_lo_u32 v13, 0xbc8f, v13
	s_delay_alu instid0(VALU_DEP_1) | instskip(NEXT) | instid1(VALU_DEP_4)
	v_cmp_lt_u32_e32 vcc_lo, v13, v12
	v_cndmask_b32_e32 v12, v15, v14, vcc_lo
	s_delay_alu instid0(VALU_DEP_1) | instskip(NEXT) | instid1(VALU_DEP_1)
	v_add_nc_u32_e32 v14, v12, v13
	v_mul_hi_u32 v12, 0xbc8f1391, v14
	s_delay_alu instid0(VALU_DEP_1) | instskip(NEXT) | instid1(VALU_DEP_1)
	v_lshrrev_b32_e32 v12, 15, v12
	v_mul_u32_u24_e32 v13, 0xadc8, v12
	s_delay_alu instid0(VALU_DEP_1) | instskip(NEXT) | instid1(VALU_DEP_1)
	v_sub_nc_u32_e32 v13, v14, v13
	v_mul_lo_u32 v15, 0xbc8f, v13
	v_mul_u32_u24_e32 v13, 0xd47, v12
	v_cvt_f32_u32_e32 v12, v10
	s_delay_alu instid0(VALU_DEP_2) | instskip(SKIP_3) | instid1(VALU_DEP_3)
	v_xor_b32_e32 v10, 0x7fffffff, v13
	v_sub_nc_u32_e32 v20, 0, v13
	v_cmp_lt_u32_e32 vcc_lo, v15, v13
	v_cvt_f32_u32_e32 v13, v11
	v_cndmask_b32_e32 v10, v20, v10, vcc_lo
	s_delay_alu instid0(VALU_DEP_2) | instskip(NEXT) | instid1(VALU_DEP_2)
	v_pk_fma_f32 v[12:13], v[12:13], s[4:5], 0 op_sel_hi:[1,0,0]
	v_dual_add_nc_u32 v11, v10, v15 :: v_dual_add_nc_u32 v10, -1, v14
	s_delay_alu instid0(VALU_DEP_2) | instskip(NEXT) | instid1(VALU_DEP_2)
	v_pk_mul_f32 v[12:13], v[12:13], v[12:13]
	v_add_nc_u32_e32 v15, -1, v11
	s_delay_alu instid0(VALU_DEP_3) | instskip(NEXT) | instid1(VALU_DEP_3)
	v_cvt_f32_u32_e32 v14, v10
	v_add_f32_e32 v10, v12, v13
	s_delay_alu instid0(VALU_DEP_3) | instskip(NEXT) | instid1(VALU_DEP_2)
	v_cvt_f32_u32_e32 v15, v15
	v_cmp_gt_f32_e32 vcc_lo, 0xf800000, v10
	s_delay_alu instid0(VALU_DEP_2) | instskip(SKIP_1) | instid1(VALU_DEP_2)
	v_pk_fma_f32 v[12:13], v[14:15], s[4:5], 0 op_sel_hi:[1,0,0]
	v_mul_f32_e32 v14, 0x4f800000, v10
	v_pk_mul_f32 v[12:13], v[12:13], v[12:13]
	s_delay_alu instid0(VALU_DEP_1) | instskip(NEXT) | instid1(VALU_DEP_1)
	v_add_f32_e32 v12, v12, v13
	v_cmp_gt_f32_e64 s1, 0xf800000, v12
	s_delay_alu instid0(VALU_DEP_4) | instskip(SKIP_1) | instid1(VALU_DEP_1)
	v_cndmask_b32_e32 v10, v10, v14, vcc_lo
	v_mul_f32_e32 v14, 0x4f800000, v12
	v_cndmask_b32_e64 v12, v12, v14, s1
	s_delay_alu instid0(VALU_DEP_3) | instskip(NEXT) | instid1(VALU_DEP_1)
	v_sqrt_f32_e32 v13, v10
	v_sqrt_f32_e32 v21, v12
	s_delay_alu instid0(TRANS32_DEP_2) | instskip(NEXT) | instid1(VALU_DEP_1)
	v_dual_add_nc_u32 v15, -1, v13 :: v_dual_add_nc_u32 v14, 1, v13
	v_fma_f32 v20, -v15, v13, v10
	s_delay_alu instid0(VALU_DEP_1) | instskip(NEXT) | instid1(VALU_DEP_1)
	v_cmp_ge_f32_e64 s2, 0, v20
	v_dual_fma_f32 v22, -v14, v13, v10 :: v_dual_cndmask_b32 v13, v13, v15, s2
	s_delay_alu instid0(VALU_DEP_1)
	v_cmp_lt_f32_e64 s2, 0, v22
	s_delay_alu instid0(TRANS32_DEP_1) | instid1(VALU_DEP_1)
	v_dual_add_nc_u32 v15, -1, v21 :: v_dual_cndmask_b32 v13, v13, v14, s2
	s_delay_alu instid0(VALU_DEP_1) | instskip(NEXT) | instid1(VALU_DEP_1)
	v_dual_add_nc_u32 v14, 1, v21 :: v_dual_fma_f32 v20, -v15, v21, v12
	v_fma_f32 v23, -v14, v21, v12
	s_delay_alu instid0(VALU_DEP_2) | instskip(NEXT) | instid1(VALU_DEP_1)
	v_cmp_ge_f32_e64 s2, 0, v20
	v_cndmask_b32_e64 v15, v21, v15, s2
	s_delay_alu instid0(VALU_DEP_3) | instskip(NEXT) | instid1(VALU_DEP_1)
	v_cmp_lt_f32_e64 s2, 0, v23
	v_cndmask_b32_e64 v14, v15, v14, s2
	v_mul_f32_e32 v22, 0x37800000, v13
	s_delay_alu instid0(VALU_DEP_1) | instskip(SKIP_1) | instid1(VALU_DEP_2)
	v_cndmask_b32_e32 v13, v13, v22, vcc_lo
	v_cmp_class_f32_e64 vcc_lo, v10, 0x260
	v_cndmask_b32_e32 v10, v13, v10, vcc_lo
	v_mul_f32_e32 v13, 0x37800000, v14
	s_delay_alu instid0(VALU_DEP_2) | instskip(NEXT) | instid1(VALU_DEP_2)
	v_cmp_nge_f32_e32 vcc_lo, 1.0, v10
	v_cndmask_b32_e64 v10, v14, v13, s1
	v_cndmask_b32_e32 v5, v19, v5, vcc_lo
	v_cmp_class_f32_e64 vcc_lo, v12, 0x260
	s_delay_alu instid0(VALU_DEP_2) | instskip(NEXT) | instid1(VALU_DEP_1)
	v_dual_add_f32 v13, 1.0, v5 :: v_dual_cndmask_b32 v10, v10, v12
	v_cmp_nge_f32_e32 vcc_lo, 1.0, v10
	s_delay_alu instid0(VALU_DEP_2)
	v_cndmask_b32_e32 v5, v13, v5, vcc_lo
	s_cbranch_scc1 .LBB27_671
; %bb.672:
	s_delay_alu instid0(VALU_DEP_1) | instskip(NEXT) | instid1(VALU_DEP_1)
	v_mul_f32_e32 v5, 4.0, v5
	v_div_scale_f32 v10, null, 0x459c4000, 0x459c4000, v5
	s_delay_alu instid0(VALU_DEP_1) | instskip(SKIP_1) | instid1(TRANS32_DEP_1)
	v_rcp_f32_e32 v11, v10
	v_nop
	v_fma_f32 v12, -v10, v11, 1.0
	s_delay_alu instid0(VALU_DEP_1) | instskip(SKIP_1) | instid1(VALU_DEP_1)
	v_fmac_f32_e32 v11, v12, v11
	v_div_scale_f32 v12, vcc_lo, v5, 0x459c4000, v5
	v_mul_f32_e32 v13, v12, v11
	s_delay_alu instid0(VALU_DEP_1) | instskip(NEXT) | instid1(VALU_DEP_1)
	v_fma_f32 v14, -v10, v13, v12
	v_fmac_f32_e32 v13, v14, v11
	s_delay_alu instid0(VALU_DEP_1) | instskip(NEXT) | instid1(VALU_DEP_1)
	v_fma_f32 v10, -v10, v13, v12
	v_div_fmas_f32 v10, v10, v11, v13
	s_delay_alu instid0(VALU_DEP_1)
	v_div_fixup_f32 v5, v10, 0x459c4000, v5
.LBB27_673:
	s_or_b32 exec_lo, exec_lo, s14
	v_add_nc_u32_e32 v10, 0x200, v50
	s_delay_alu instid0(VALU_DEP_1)
	v_cmp_lt_u32_e64 s1, v10, v17
	s_and_saveexec_b32 s14, s1
	s_cbranch_execz .LBB27_713
; %bb.674:
	v_dual_mov_b32 v11, 1 :: v_dual_add_nc_u32 v4, v18, v10
	s_mov_b32 s3, 0
	s_mov_b32 s15, exec_lo
	s_delay_alu instid0(VALU_DEP_1) | instskip(NEXT) | instid1(VALU_DEP_1)
	v_mul_lo_u32 v10, 0x1388, v4
	v_cmpx_ne_u32_e32 0, v10
	s_cbranch_execz .LBB27_710
; %bb.675:
	v_mov_b32_e32 v11, 0
	v_mov_b64_e32 v[14:15], 1
	s_mov_b64 s[12:13], 0xbc8f
	s_mov_b64 s[4:5], 0xfffffffd
	;; [unrolled: 1-line block ×3, first 2 shown]
	v_mov_b64_e32 v[12:13], v[10:11]
	s_mov_b64 s[10:11], 0x80000001
	s_mov_b32 s18, 0
	s_branch .LBB27_677
.LBB27_676:                             ;   in Loop: Header=BB27_677 Depth=1
	s_or_b32 exec_lo, exec_lo, s2
	s_mul_u64 s[12:13], s[12:13], s[12:13]
	s_mov_b32 s21, s3
	s_and_b64 s[22:23], s[12:13], s[4:5]
	s_mov_b32 s2, s13
	s_mul_u64 s[24:25], s[22:23], 3
	s_mul_u64 s[26:27], s[2:3], 3
	s_mov_b32 s20, s25
	s_mul_u64 s[22:23], s[22:23], s[10:11]
	s_add_nc_u64 s[20:21], s[26:27], s[20:21]
	v_lshrrev_b64 v[20:21], 1, v[12:13]
	s_and_b64 s[26:27], s[20:21], s[8:9]
	s_mov_b32 s25, s3
	s_add_nc_u64 s[22:23], s[22:23], s[26:27]
	s_mov_b32 s41, s3
	s_mov_b32 s24, s21
	;; [unrolled: 1-line block ×3, first 2 shown]
	s_mul_u64 s[22:23], s[2:3], s[10:11]
	s_add_nc_u64 s[20:21], s[24:25], s[40:41]
	v_cmp_gt_u64_e32 vcc_lo, 2, v[12:13]
	s_add_nc_u64 s[20:21], s[22:23], s[20:21]
	v_mov_b64_e32 v[12:13], v[20:21]
	s_lshr_b64 s[20:21], s[20:21], 30
	s_delay_alu instid0(SALU_CYCLE_1)
	s_mul_u64 s[20:21], s[20:21], 0x7fffffff
	s_or_b32 s18, vcc_lo, s18
	s_sub_nc_u64 s[12:13], s[12:13], s[20:21]
	s_and_not1_b32 exec_lo, exec_lo, s18
	s_cbranch_execz .LBB27_709
.LBB27_677:                             ; =>This Inner Loop Header: Depth=1
	s_delay_alu instid0(VALU_DEP_1) | instskip(SKIP_1) | instid1(VALU_DEP_1)
	v_and_b32_e32 v4, 1, v12
	s_mov_b32 s2, exec_lo
	v_cmpx_eq_u32_e32 1, v4
	s_cbranch_execz .LBB27_676
; %bb.678:                              ;   in Loop: Header=BB27_677 Depth=1
	v_mul_u64_e32 v[14:15], s[12:13], v[14:15]
	s_delay_alu instid0(VALU_DEP_1) | instskip(NEXT) | instid1(VALU_DEP_1)
	v_mov_b32_e32 v10, v14
	v_mul_u64_e32 v[20:21], 5, v[10:11]
	s_delay_alu instid0(VALU_DEP_1) | instskip(NEXT) | instid1(VALU_DEP_1)
	v_mov_b32_e32 v10, v21
	v_mad_nc_u64_u32 v[20:21], v15, 5, v[10:11]
	s_delay_alu instid0(VALU_DEP_1) | instskip(NEXT) | instid1(VALU_DEP_1)
	v_dual_mov_b32 v10, v21 :: v_dual_mov_b32 v21, v11
	v_mad_nc_u64_u32 v[20:21], v14, 2, v[20:21]
	s_delay_alu instid0(VALU_DEP_1) | instskip(NEXT) | instid1(VALU_DEP_1)
	v_dual_mov_b32 v20, v21 :: v_dual_mov_b32 v21, v11
	v_add_nc_u64_e32 v[20:21], v[10:11], v[20:21]
	s_delay_alu instid0(VALU_DEP_1) | instskip(NEXT) | instid1(VALU_DEP_1)
	v_mad_nc_u64_u32 v[20:21], v15, 2, v[20:21]
	v_sub_nc_u64_e32 v[22:23], v[14:15], v[20:21]
	s_delay_alu instid0(VALU_DEP_1) | instskip(NEXT) | instid1(VALU_DEP_1)
	v_lshrrev_b64 v[22:23], 1, v[22:23]
	v_add_nc_u64_e32 v[20:21], v[22:23], v[20:21]
	s_delay_alu instid0(VALU_DEP_1) | instskip(NEXT) | instid1(VALU_DEP_1)
	v_lshrrev_b64 v[20:21], 30, v[20:21]
	v_mul_u64_e32 v[20:21], 0x7fffffff, v[20:21]
	s_delay_alu instid0(VALU_DEP_1)
	v_sub_nc_u64_e32 v[14:15], v[14:15], v[20:21]
	s_branch .LBB27_676
.LBB27_679:
	s_or_b32 exec_lo, exec_lo, s15
	v_add_min_u32_e64 v3, 0x80000001, v18, v18
	s_delay_alu instid0(VALU_DEP_1)
	v_add_min_u32_e64 v15, 0x80000001, v3, v3
.LBB27_680:
	s_or_b32 exec_lo, exec_lo, s1
	v_mov_b32_e32 v3, 0
	s_movk_i32 s3, 0x1388
	s_brev_b32 s4, 12
.LBB27_681:                             ; =>This Inner Loop Header: Depth=1
	v_mul_hi_u32 v14, 0xbc8f1391, v15
	s_add_co_i32 s3, s3, -2
	s_delay_alu instid0(VALU_DEP_2) | instskip(SKIP_1) | instid1(VALU_DEP_2)
	v_add_f32_e32 v23, 1.0, v3
	s_cmp_lg_u32 s3, 0
	v_lshrrev_b32_e32 v14, 15, v14
	s_delay_alu instid0(VALU_DEP_1) | instskip(NEXT) | instid1(VALU_DEP_1)
	v_mul_u32_u24_e32 v16, 0xadc8, v14
	v_sub_nc_u32_e32 v15, v15, v16
	v_mul_u32_u24_e32 v14, 0xd47, v14
	s_delay_alu instid0(VALU_DEP_2) | instskip(NEXT) | instid1(VALU_DEP_2)
	v_mul_lo_u32 v15, 0xbc8f, v15
	v_xor_b32_e32 v16, 0x7fffffff, v14
	v_sub_nc_u32_e32 v17, 0, v14
	s_delay_alu instid0(VALU_DEP_3) | instskip(NEXT) | instid1(VALU_DEP_2)
	v_cmp_lt_u32_e32 vcc_lo, v15, v14
	v_cndmask_b32_e32 v14, v17, v16, vcc_lo
	s_delay_alu instid0(VALU_DEP_1) | instskip(NEXT) | instid1(VALU_DEP_1)
	v_add_nc_u32_e32 v14, v14, v15
	v_mul_hi_u32 v15, 0xbc8f1391, v14
	s_delay_alu instid0(VALU_DEP_1) | instskip(NEXT) | instid1(VALU_DEP_1)
	v_lshrrev_b32_e32 v15, 15, v15
	v_mul_u32_u24_e32 v16, 0xadc8, v15
	v_mul_u32_u24_e32 v15, 0xd47, v15
	s_delay_alu instid0(VALU_DEP_1) | instskip(SKIP_2) | instid1(VALU_DEP_3)
	v_dual_sub_nc_u32 v16, v14, v16 :: v_dual_sub_nc_u32 v18, 0, v15
	v_xor_b32_e32 v17, 0x7fffffff, v15
	v_add_nc_u32_e32 v14, -1, v14
	v_mul_lo_u32 v16, 0xbc8f, v16
	s_delay_alu instid0(VALU_DEP_1) | instskip(NEXT) | instid1(VALU_DEP_4)
	v_cmp_lt_u32_e32 vcc_lo, v16, v15
	v_cndmask_b32_e32 v15, v18, v17, vcc_lo
	s_delay_alu instid0(VALU_DEP_1) | instskip(NEXT) | instid1(VALU_DEP_1)
	v_add_nc_u32_e32 v15, v15, v16
	v_mul_hi_u32 v16, 0xbc8f1391, v15
	s_delay_alu instid0(VALU_DEP_1) | instskip(NEXT) | instid1(VALU_DEP_1)
	v_lshrrev_b32_e32 v16, 15, v16
	v_mul_u32_u24_e32 v17, 0xadc8, v16
	v_mul_u32_u24_e32 v16, 0xd47, v16
	s_delay_alu instid0(VALU_DEP_1) | instskip(SKIP_2) | instid1(VALU_DEP_3)
	v_dual_sub_nc_u32 v19, 0, v16 :: v_dual_sub_nc_u32 v17, v15, v17
	v_xor_b32_e32 v18, 0x7fffffff, v16
	v_add_nc_u32_e32 v15, -1, v15
	v_mul_lo_u32 v17, 0xbc8f, v17
	s_delay_alu instid0(VALU_DEP_1) | instskip(NEXT) | instid1(VALU_DEP_4)
	v_cmp_lt_u32_e32 vcc_lo, v17, v16
	v_cndmask_b32_e32 v16, v19, v18, vcc_lo
	s_delay_alu instid0(VALU_DEP_1) | instskip(NEXT) | instid1(VALU_DEP_1)
	v_add_nc_u32_e32 v18, v16, v17
	v_mul_hi_u32 v16, 0xbc8f1391, v18
	s_delay_alu instid0(VALU_DEP_1) | instskip(NEXT) | instid1(VALU_DEP_1)
	v_lshrrev_b32_e32 v16, 15, v16
	v_mul_u32_u24_e32 v17, 0xadc8, v16
	s_delay_alu instid0(VALU_DEP_1) | instskip(NEXT) | instid1(VALU_DEP_1)
	v_sub_nc_u32_e32 v17, v18, v17
	v_mul_lo_u32 v19, 0xbc8f, v17
	v_mul_u32_u24_e32 v17, 0xd47, v16
	v_cvt_f32_u32_e32 v16, v14
	s_delay_alu instid0(VALU_DEP_2) | instskip(SKIP_3) | instid1(VALU_DEP_3)
	v_xor_b32_e32 v14, 0x7fffffff, v17
	v_sub_nc_u32_e32 v24, 0, v17
	v_cmp_lt_u32_e32 vcc_lo, v19, v17
	v_cvt_f32_u32_e32 v17, v15
	v_cndmask_b32_e32 v14, v24, v14, vcc_lo
	s_delay_alu instid0(VALU_DEP_2) | instskip(NEXT) | instid1(VALU_DEP_2)
	v_pk_fma_f32 v[16:17], v[16:17], s[4:5], 0 op_sel_hi:[1,0,0]
	v_dual_add_nc_u32 v15, v14, v19 :: v_dual_add_nc_u32 v14, -1, v18
	s_delay_alu instid0(VALU_DEP_2) | instskip(NEXT) | instid1(VALU_DEP_2)
	v_pk_mul_f32 v[16:17], v[16:17], v[16:17]
	v_add_nc_u32_e32 v19, -1, v15
	s_delay_alu instid0(VALU_DEP_3) | instskip(NEXT) | instid1(VALU_DEP_3)
	v_cvt_f32_u32_e32 v18, v14
	v_add_f32_e32 v14, v16, v17
	s_delay_alu instid0(VALU_DEP_3) | instskip(NEXT) | instid1(VALU_DEP_2)
	v_cvt_f32_u32_e32 v19, v19
	v_cmp_gt_f32_e32 vcc_lo, 0xf800000, v14
	s_delay_alu instid0(VALU_DEP_2) | instskip(SKIP_1) | instid1(VALU_DEP_2)
	v_pk_fma_f32 v[16:17], v[18:19], s[4:5], 0 op_sel_hi:[1,0,0]
	v_mul_f32_e32 v18, 0x4f800000, v14
	v_pk_mul_f32 v[16:17], v[16:17], v[16:17]
	s_delay_alu instid0(VALU_DEP_1) | instskip(NEXT) | instid1(VALU_DEP_1)
	v_add_f32_e32 v16, v16, v17
	v_cmp_gt_f32_e64 s1, 0xf800000, v16
	s_delay_alu instid0(VALU_DEP_4) | instskip(SKIP_1) | instid1(VALU_DEP_1)
	v_cndmask_b32_e32 v14, v14, v18, vcc_lo
	v_mul_f32_e32 v18, 0x4f800000, v16
	v_cndmask_b32_e64 v16, v16, v18, s1
	s_delay_alu instid0(VALU_DEP_3) | instskip(NEXT) | instid1(VALU_DEP_1)
	v_sqrt_f32_e32 v17, v14
	v_sqrt_f32_e32 v25, v16
	s_delay_alu instid0(TRANS32_DEP_2) | instskip(NEXT) | instid1(VALU_DEP_1)
	v_dual_add_nc_u32 v19, -1, v17 :: v_dual_add_nc_u32 v18, 1, v17
	v_fma_f32 v24, -v19, v17, v14
	s_delay_alu instid0(VALU_DEP_1) | instskip(NEXT) | instid1(VALU_DEP_1)
	v_cmp_ge_f32_e64 s2, 0, v24
	v_dual_fma_f32 v26, -v18, v17, v14 :: v_dual_cndmask_b32 v17, v17, v19, s2
	s_delay_alu instid0(VALU_DEP_1)
	v_cmp_lt_f32_e64 s2, 0, v26
	s_delay_alu instid0(TRANS32_DEP_1) | instid1(VALU_DEP_1)
	v_dual_add_nc_u32 v19, -1, v25 :: v_dual_cndmask_b32 v17, v17, v18, s2
	s_delay_alu instid0(VALU_DEP_1) | instskip(NEXT) | instid1(VALU_DEP_1)
	v_dual_add_nc_u32 v18, 1, v25 :: v_dual_fma_f32 v24, -v19, v25, v16
	v_fma_f32 v27, -v18, v25, v16
	s_delay_alu instid0(VALU_DEP_2) | instskip(NEXT) | instid1(VALU_DEP_1)
	v_cmp_ge_f32_e64 s2, 0, v24
	v_cndmask_b32_e64 v19, v25, v19, s2
	s_delay_alu instid0(VALU_DEP_3) | instskip(NEXT) | instid1(VALU_DEP_1)
	v_cmp_lt_f32_e64 s2, 0, v27
	v_cndmask_b32_e64 v18, v19, v18, s2
	v_mul_f32_e32 v26, 0x37800000, v17
	s_delay_alu instid0(VALU_DEP_1) | instskip(SKIP_1) | instid1(VALU_DEP_2)
	v_cndmask_b32_e32 v17, v17, v26, vcc_lo
	v_cmp_class_f32_e64 vcc_lo, v14, 0x260
	v_cndmask_b32_e32 v14, v17, v14, vcc_lo
	v_mul_f32_e32 v17, 0x37800000, v18
	s_delay_alu instid0(VALU_DEP_2) | instskip(NEXT) | instid1(VALU_DEP_2)
	v_cmp_nge_f32_e32 vcc_lo, 1.0, v14
	v_dual_cndmask_b32 v14, v18, v17, s1 :: v_dual_cndmask_b32 v3, v23, v3, vcc_lo
	v_cmp_class_f32_e64 vcc_lo, v16, 0x260
	s_delay_alu instid0(VALU_DEP_2) | instskip(NEXT) | instid1(VALU_DEP_1)
	v_dual_add_f32 v17, 1.0, v3 :: v_dual_cndmask_b32 v14, v14, v16
	v_cmp_nge_f32_e32 vcc_lo, 1.0, v14
	s_delay_alu instid0(VALU_DEP_2)
	v_cndmask_b32_e32 v3, v17, v3, vcc_lo
	s_cbranch_scc1 .LBB27_681
; %bb.682:
	s_delay_alu instid0(VALU_DEP_1) | instskip(NEXT) | instid1(VALU_DEP_1)
	v_mul_f32_e32 v3, 4.0, v3
	v_div_scale_f32 v14, null, 0x459c4000, 0x459c4000, v3
	s_delay_alu instid0(VALU_DEP_1) | instskip(SKIP_1) | instid1(TRANS32_DEP_1)
	v_rcp_f32_e32 v15, v14
	v_nop
	v_fma_f32 v16, -v14, v15, 1.0
	s_delay_alu instid0(VALU_DEP_1) | instskip(SKIP_1) | instid1(VALU_DEP_1)
	v_fmac_f32_e32 v15, v16, v15
	v_div_scale_f32 v16, vcc_lo, v3, 0x459c4000, v3
	v_mul_f32_e32 v17, v16, v15
	s_delay_alu instid0(VALU_DEP_1) | instskip(NEXT) | instid1(VALU_DEP_1)
	v_fma_f32 v18, -v14, v17, v16
	v_fmac_f32_e32 v17, v18, v15
	s_delay_alu instid0(VALU_DEP_1) | instskip(NEXT) | instid1(VALU_DEP_1)
	v_fma_f32 v14, -v14, v17, v16
	v_div_fmas_f32 v14, v14, v15, v17
	s_delay_alu instid0(VALU_DEP_1)
	v_div_fixup_f32 v3, v14, 0x459c4000, v3
.LBB27_683:
	s_or_b32 exec_lo, exec_lo, s14
	v_add_nc_u32_e32 v14, 0x200, v50
	s_delay_alu instid0(VALU_DEP_1)
	v_cmp_lt_u32_e64 s1, v14, v21
	s_and_saveexec_b32 s14, s1
	s_cbranch_execz .LBB27_723
; %bb.684:
	v_dual_mov_b32 v15, 1 :: v_dual_add_nc_u32 v4, v22, v14
	s_mov_b32 s3, 0
	s_mov_b32 s15, exec_lo
	s_delay_alu instid0(VALU_DEP_1) | instskip(NEXT) | instid1(VALU_DEP_1)
	v_mul_lo_u32 v14, 0x1388, v4
	v_cmpx_ne_u32_e32 0, v14
	s_cbranch_execz .LBB27_720
; %bb.685:
	v_mov_b32_e32 v15, 0
	v_mov_b64_e32 v[18:19], 1
	s_mov_b64 s[12:13], 0xbc8f
	s_mov_b64 s[4:5], 0xfffffffd
	;; [unrolled: 1-line block ×3, first 2 shown]
	v_mov_b64_e32 v[16:17], v[14:15]
	s_mov_b64 s[8:9], 0x80000001
	s_mov_b32 s16, 0
	s_branch .LBB27_687
.LBB27_686:                             ;   in Loop: Header=BB27_687 Depth=1
	s_or_b32 exec_lo, exec_lo, s2
	s_mul_u64 s[12:13], s[12:13], s[12:13]
	s_mov_b32 s19, s3
	s_and_b64 s[22:23], s[12:13], s[4:5]
	s_mov_b32 s2, s13
	s_mul_u64 s[24:25], s[22:23], 3
	s_mul_u64 s[26:27], s[2:3], 3
	s_mov_b32 s18, s25
	s_mul_u64 s[22:23], s[22:23], s[8:9]
	s_add_nc_u64 s[18:19], s[26:27], s[18:19]
	v_lshrrev_b64 v[24:25], 1, v[16:17]
	s_and_b64 s[26:27], s[18:19], s[6:7]
	s_mov_b32 s25, s3
	s_add_nc_u64 s[22:23], s[22:23], s[26:27]
	s_mov_b32 s41, s3
	s_mov_b32 s24, s19
	;; [unrolled: 1-line block ×3, first 2 shown]
	s_mul_u64 s[22:23], s[2:3], s[8:9]
	s_add_nc_u64 s[18:19], s[24:25], s[40:41]
	v_cmp_gt_u64_e32 vcc_lo, 2, v[16:17]
	s_add_nc_u64 s[18:19], s[22:23], s[18:19]
	v_mov_b64_e32 v[16:17], v[24:25]
	s_lshr_b64 s[18:19], s[18:19], 30
	s_delay_alu instid0(SALU_CYCLE_1)
	s_mul_u64 s[18:19], s[18:19], 0x7fffffff
	s_or_b32 s16, vcc_lo, s16
	s_sub_nc_u64 s[12:13], s[12:13], s[18:19]
	s_and_not1_b32 exec_lo, exec_lo, s16
	s_cbranch_execz .LBB27_719
.LBB27_687:                             ; =>This Inner Loop Header: Depth=1
	s_delay_alu instid0(VALU_DEP_1) | instskip(SKIP_1) | instid1(VALU_DEP_1)
	v_and_b32_e32 v4, 1, v16
	s_mov_b32 s2, exec_lo
	v_cmpx_eq_u32_e32 1, v4
	s_cbranch_execz .LBB27_686
; %bb.688:                              ;   in Loop: Header=BB27_687 Depth=1
	v_mul_u64_e32 v[18:19], s[12:13], v[18:19]
	s_delay_alu instid0(VALU_DEP_1) | instskip(NEXT) | instid1(VALU_DEP_1)
	v_mov_b32_e32 v14, v18
	v_mul_u64_e32 v[24:25], 5, v[14:15]
	s_delay_alu instid0(VALU_DEP_1) | instskip(NEXT) | instid1(VALU_DEP_1)
	v_mov_b32_e32 v14, v25
	v_mad_nc_u64_u32 v[24:25], v19, 5, v[14:15]
	s_delay_alu instid0(VALU_DEP_1) | instskip(NEXT) | instid1(VALU_DEP_1)
	v_dual_mov_b32 v14, v25 :: v_dual_mov_b32 v25, v15
	v_mad_nc_u64_u32 v[24:25], v18, 2, v[24:25]
	s_delay_alu instid0(VALU_DEP_1) | instskip(NEXT) | instid1(VALU_DEP_1)
	v_dual_mov_b32 v24, v25 :: v_dual_mov_b32 v25, v15
	v_add_nc_u64_e32 v[24:25], v[14:15], v[24:25]
	s_delay_alu instid0(VALU_DEP_1) | instskip(NEXT) | instid1(VALU_DEP_1)
	v_mad_nc_u64_u32 v[24:25], v19, 2, v[24:25]
	v_sub_nc_u64_e32 v[26:27], v[18:19], v[24:25]
	s_delay_alu instid0(VALU_DEP_1) | instskip(NEXT) | instid1(VALU_DEP_1)
	v_lshrrev_b64 v[26:27], 1, v[26:27]
	v_add_nc_u64_e32 v[24:25], v[26:27], v[24:25]
	s_delay_alu instid0(VALU_DEP_1) | instskip(NEXT) | instid1(VALU_DEP_1)
	v_lshrrev_b64 v[24:25], 30, v[24:25]
	v_mul_u64_e32 v[24:25], 0x7fffffff, v[24:25]
	s_delay_alu instid0(VALU_DEP_1)
	v_sub_nc_u64_e32 v[18:19], v[18:19], v[24:25]
	s_branch .LBB27_686
.LBB27_689:
	s_or_b32 exec_lo, exec_lo, s13
	v_add_min_u32_e64 v3, 0x80000001, v26, v26
	s_delay_alu instid0(VALU_DEP_1)
	v_add_min_u32_e64 v23, 0x80000001, v3, v3
.LBB27_690:
	s_or_b32 exec_lo, exec_lo, s1
	v_mov_b32_e32 v3, 0
	s_movk_i32 s3, 0x1388
	s_brev_b32 s4, 12
.LBB27_691:                             ; =>This Inner Loop Header: Depth=1
	v_mul_hi_u32 v22, 0xbc8f1391, v23
	s_add_co_i32 s3, s3, -2
	s_delay_alu instid0(VALU_DEP_2) | instskip(SKIP_1) | instid1(VALU_DEP_2)
	v_add_f32_e32 v31, 1.0, v3
	s_cmp_lg_u32 s3, 0
	v_lshrrev_b32_e32 v22, 15, v22
	s_delay_alu instid0(VALU_DEP_1) | instskip(NEXT) | instid1(VALU_DEP_1)
	v_mul_u32_u24_e32 v24, 0xadc8, v22
	v_sub_nc_u32_e32 v23, v23, v24
	v_mul_u32_u24_e32 v22, 0xd47, v22
	s_delay_alu instid0(VALU_DEP_2) | instskip(NEXT) | instid1(VALU_DEP_2)
	v_mul_lo_u32 v23, 0xbc8f, v23
	v_xor_b32_e32 v24, 0x7fffffff, v22
	v_sub_nc_u32_e32 v25, 0, v22
	s_delay_alu instid0(VALU_DEP_3) | instskip(NEXT) | instid1(VALU_DEP_2)
	v_cmp_lt_u32_e32 vcc_lo, v23, v22
	v_cndmask_b32_e32 v22, v25, v24, vcc_lo
	s_delay_alu instid0(VALU_DEP_1) | instskip(NEXT) | instid1(VALU_DEP_1)
	v_add_nc_u32_e32 v22, v22, v23
	v_mul_hi_u32 v23, 0xbc8f1391, v22
	s_delay_alu instid0(VALU_DEP_1) | instskip(NEXT) | instid1(VALU_DEP_1)
	v_lshrrev_b32_e32 v23, 15, v23
	v_mul_u32_u24_e32 v24, 0xadc8, v23
	v_mul_u32_u24_e32 v23, 0xd47, v23
	s_delay_alu instid0(VALU_DEP_1) | instskip(SKIP_2) | instid1(VALU_DEP_3)
	v_dual_sub_nc_u32 v24, v22, v24 :: v_dual_sub_nc_u32 v26, 0, v23
	v_xor_b32_e32 v25, 0x7fffffff, v23
	v_add_nc_u32_e32 v22, -1, v22
	v_mul_lo_u32 v24, 0xbc8f, v24
	s_delay_alu instid0(VALU_DEP_1) | instskip(NEXT) | instid1(VALU_DEP_4)
	v_cmp_lt_u32_e32 vcc_lo, v24, v23
	v_cndmask_b32_e32 v23, v26, v25, vcc_lo
	s_delay_alu instid0(VALU_DEP_1) | instskip(NEXT) | instid1(VALU_DEP_1)
	v_add_nc_u32_e32 v23, v23, v24
	v_mul_hi_u32 v24, 0xbc8f1391, v23
	s_delay_alu instid0(VALU_DEP_1) | instskip(NEXT) | instid1(VALU_DEP_1)
	v_lshrrev_b32_e32 v24, 15, v24
	v_mul_u32_u24_e32 v25, 0xadc8, v24
	v_mul_u32_u24_e32 v24, 0xd47, v24
	s_delay_alu instid0(VALU_DEP_1) | instskip(SKIP_2) | instid1(VALU_DEP_3)
	v_dual_sub_nc_u32 v27, 0, v24 :: v_dual_sub_nc_u32 v25, v23, v25
	v_xor_b32_e32 v26, 0x7fffffff, v24
	v_add_nc_u32_e32 v23, -1, v23
	v_mul_lo_u32 v25, 0xbc8f, v25
	s_delay_alu instid0(VALU_DEP_1) | instskip(NEXT) | instid1(VALU_DEP_4)
	v_cmp_lt_u32_e32 vcc_lo, v25, v24
	v_cndmask_b32_e32 v24, v27, v26, vcc_lo
	s_delay_alu instid0(VALU_DEP_1) | instskip(NEXT) | instid1(VALU_DEP_1)
	v_add_nc_u32_e32 v26, v24, v25
	v_mul_hi_u32 v24, 0xbc8f1391, v26
	s_delay_alu instid0(VALU_DEP_1) | instskip(NEXT) | instid1(VALU_DEP_1)
	v_lshrrev_b32_e32 v24, 15, v24
	v_mul_u32_u24_e32 v25, 0xadc8, v24
	s_delay_alu instid0(VALU_DEP_1) | instskip(NEXT) | instid1(VALU_DEP_1)
	v_sub_nc_u32_e32 v25, v26, v25
	v_mul_lo_u32 v27, 0xbc8f, v25
	v_mul_u32_u24_e32 v25, 0xd47, v24
	v_cvt_f32_u32_e32 v24, v22
	s_delay_alu instid0(VALU_DEP_2) | instskip(SKIP_3) | instid1(VALU_DEP_3)
	v_xor_b32_e32 v22, 0x7fffffff, v25
	v_sub_nc_u32_e32 v32, 0, v25
	v_cmp_lt_u32_e32 vcc_lo, v27, v25
	v_cvt_f32_u32_e32 v25, v23
	v_cndmask_b32_e32 v22, v32, v22, vcc_lo
	s_delay_alu instid0(VALU_DEP_2) | instskip(NEXT) | instid1(VALU_DEP_2)
	v_pk_fma_f32 v[24:25], v[24:25], s[4:5], 0 op_sel_hi:[1,0,0]
	v_dual_add_nc_u32 v23, v22, v27 :: v_dual_add_nc_u32 v22, -1, v26
	s_delay_alu instid0(VALU_DEP_2) | instskip(NEXT) | instid1(VALU_DEP_2)
	v_pk_mul_f32 v[24:25], v[24:25], v[24:25]
	v_add_nc_u32_e32 v27, -1, v23
	s_delay_alu instid0(VALU_DEP_3) | instskip(NEXT) | instid1(VALU_DEP_3)
	v_cvt_f32_u32_e32 v26, v22
	v_add_f32_e32 v22, v24, v25
	s_delay_alu instid0(VALU_DEP_3) | instskip(NEXT) | instid1(VALU_DEP_2)
	v_cvt_f32_u32_e32 v27, v27
	v_cmp_gt_f32_e32 vcc_lo, 0xf800000, v22
	s_delay_alu instid0(VALU_DEP_2) | instskip(SKIP_1) | instid1(VALU_DEP_2)
	v_pk_fma_f32 v[24:25], v[26:27], s[4:5], 0 op_sel_hi:[1,0,0]
	v_mul_f32_e32 v26, 0x4f800000, v22
	v_pk_mul_f32 v[24:25], v[24:25], v[24:25]
	s_delay_alu instid0(VALU_DEP_1) | instskip(NEXT) | instid1(VALU_DEP_1)
	v_add_f32_e32 v24, v24, v25
	v_cmp_gt_f32_e64 s1, 0xf800000, v24
	s_delay_alu instid0(VALU_DEP_4) | instskip(SKIP_1) | instid1(VALU_DEP_1)
	v_cndmask_b32_e32 v22, v22, v26, vcc_lo
	v_mul_f32_e32 v26, 0x4f800000, v24
	v_cndmask_b32_e64 v24, v24, v26, s1
	s_delay_alu instid0(VALU_DEP_3) | instskip(NEXT) | instid1(VALU_DEP_1)
	v_sqrt_f32_e32 v25, v22
	v_sqrt_f32_e32 v33, v24
	s_delay_alu instid0(TRANS32_DEP_2) | instskip(NEXT) | instid1(VALU_DEP_1)
	v_dual_add_nc_u32 v27, -1, v25 :: v_dual_add_nc_u32 v26, 1, v25
	v_fma_f32 v32, -v27, v25, v22
	s_delay_alu instid0(VALU_DEP_1) | instskip(NEXT) | instid1(VALU_DEP_1)
	v_cmp_ge_f32_e64 s2, 0, v32
	v_dual_fma_f32 v34, -v26, v25, v22 :: v_dual_cndmask_b32 v25, v25, v27, s2
	s_delay_alu instid0(VALU_DEP_1)
	v_cmp_lt_f32_e64 s2, 0, v34
	s_delay_alu instid0(TRANS32_DEP_1) | instid1(VALU_DEP_1)
	v_dual_add_nc_u32 v27, -1, v33 :: v_dual_cndmask_b32 v25, v25, v26, s2
	s_delay_alu instid0(VALU_DEP_1) | instskip(NEXT) | instid1(VALU_DEP_1)
	v_dual_add_nc_u32 v26, 1, v33 :: v_dual_fma_f32 v32, -v27, v33, v24
	v_fma_f32 v35, -v26, v33, v24
	s_delay_alu instid0(VALU_DEP_2) | instskip(NEXT) | instid1(VALU_DEP_1)
	v_cmp_ge_f32_e64 s2, 0, v32
	v_cndmask_b32_e64 v27, v33, v27, s2
	s_delay_alu instid0(VALU_DEP_3) | instskip(NEXT) | instid1(VALU_DEP_1)
	v_cmp_lt_f32_e64 s2, 0, v35
	v_cndmask_b32_e64 v26, v27, v26, s2
	v_mul_f32_e32 v34, 0x37800000, v25
	s_delay_alu instid0(VALU_DEP_1) | instskip(SKIP_1) | instid1(VALU_DEP_2)
	v_cndmask_b32_e32 v25, v25, v34, vcc_lo
	v_cmp_class_f32_e64 vcc_lo, v22, 0x260
	v_cndmask_b32_e32 v22, v25, v22, vcc_lo
	v_mul_f32_e32 v25, 0x37800000, v26
	s_delay_alu instid0(VALU_DEP_2) | instskip(NEXT) | instid1(VALU_DEP_2)
	v_cmp_nge_f32_e32 vcc_lo, 1.0, v22
	v_dual_cndmask_b32 v22, v26, v25, s1 :: v_dual_cndmask_b32 v3, v31, v3, vcc_lo
	v_cmp_class_f32_e64 vcc_lo, v24, 0x260
	s_delay_alu instid0(VALU_DEP_2) | instskip(NEXT) | instid1(VALU_DEP_1)
	v_dual_add_f32 v25, 1.0, v3 :: v_dual_cndmask_b32 v22, v22, v24
	v_cmp_nge_f32_e32 vcc_lo, 1.0, v22
	s_delay_alu instid0(VALU_DEP_2)
	v_cndmask_b32_e32 v3, v25, v3, vcc_lo
	s_cbranch_scc1 .LBB27_691
; %bb.692:
	s_delay_alu instid0(VALU_DEP_1) | instskip(NEXT) | instid1(VALU_DEP_1)
	v_mul_f32_e32 v3, 4.0, v3
	v_div_scale_f32 v22, null, 0x459c4000, 0x459c4000, v3
	s_delay_alu instid0(VALU_DEP_1) | instskip(SKIP_1) | instid1(TRANS32_DEP_1)
	v_rcp_f32_e32 v23, v22
	v_nop
	v_fma_f32 v24, -v22, v23, 1.0
	s_delay_alu instid0(VALU_DEP_1) | instskip(SKIP_1) | instid1(VALU_DEP_1)
	v_fmac_f32_e32 v23, v24, v23
	v_div_scale_f32 v24, vcc_lo, v3, 0x459c4000, v3
	v_mul_f32_e32 v25, v24, v23
	s_delay_alu instid0(VALU_DEP_1) | instskip(NEXT) | instid1(VALU_DEP_1)
	v_fma_f32 v26, -v22, v25, v24
	v_fmac_f32_e32 v25, v26, v23
	s_delay_alu instid0(VALU_DEP_1) | instskip(NEXT) | instid1(VALU_DEP_1)
	v_fma_f32 v22, -v22, v25, v24
	v_div_fmas_f32 v22, v22, v23, v25
	s_delay_alu instid0(VALU_DEP_1)
	v_div_fixup_f32 v3, v22, 0x459c4000, v3
.LBB27_693:
	s_or_b32 exec_lo, exec_lo, s12
	v_add_nc_u32_e32 v22, 0x200, v50
	s_delay_alu instid0(VALU_DEP_1)
	v_cmp_lt_u32_e64 s1, v22, v29
	s_and_saveexec_b32 s12, s1
	s_cbranch_execz .LBB27_733
; %bb.694:
	v_dual_mov_b32 v23, 1 :: v_dual_add_nc_u32 v4, v30, v22
	s_mov_b32 s3, 0
	s_mov_b32 s13, exec_lo
	s_delay_alu instid0(VALU_DEP_1) | instskip(NEXT) | instid1(VALU_DEP_1)
	v_mul_lo_u32 v22, 0x1388, v4
	v_cmpx_ne_u32_e32 0, v22
	s_cbranch_execz .LBB27_730
; %bb.695:
	v_mov_b32_e32 v23, 0
	v_mov_b64_e32 v[26:27], 1
	s_mov_b64 s[10:11], 0xbc8f
	s_mov_b64 s[4:5], 0xfffffffd
	;; [unrolled: 1-line block ×3, first 2 shown]
	v_mov_b64_e32 v[24:25], v[22:23]
	s_mov_b64 s[8:9], 0x80000001
	s_mov_b32 s14, 0
	s_branch .LBB27_697
.LBB27_696:                             ;   in Loop: Header=BB27_697 Depth=1
	s_or_b32 exec_lo, exec_lo, s2
	s_mul_u64 s[10:11], s[10:11], s[10:11]
	s_mov_b32 s17, s3
	s_and_b64 s[20:21], s[10:11], s[4:5]
	s_mov_b32 s2, s11
	s_mul_u64 s[22:23], s[20:21], 3
	s_mul_u64 s[24:25], s[2:3], 3
	s_mov_b32 s16, s23
	s_mul_u64 s[20:21], s[20:21], s[8:9]
	s_add_nc_u64 s[16:17], s[24:25], s[16:17]
	v_lshrrev_b64 v[32:33], 1, v[24:25]
	s_and_b64 s[24:25], s[16:17], s[6:7]
	s_mov_b32 s23, s3
	s_add_nc_u64 s[20:21], s[20:21], s[24:25]
	s_mov_b32 s27, s3
	s_mov_b32 s22, s17
	;; [unrolled: 1-line block ×3, first 2 shown]
	s_mul_u64 s[20:21], s[2:3], s[8:9]
	s_add_nc_u64 s[16:17], s[22:23], s[26:27]
	v_cmp_gt_u64_e32 vcc_lo, 2, v[24:25]
	s_add_nc_u64 s[16:17], s[20:21], s[16:17]
	v_mov_b64_e32 v[24:25], v[32:33]
	s_lshr_b64 s[16:17], s[16:17], 30
	s_delay_alu instid0(SALU_CYCLE_1)
	s_mul_u64 s[16:17], s[16:17], 0x7fffffff
	s_or_b32 s14, vcc_lo, s14
	s_sub_nc_u64 s[10:11], s[10:11], s[16:17]
	s_and_not1_b32 exec_lo, exec_lo, s14
	s_cbranch_execz .LBB27_729
.LBB27_697:                             ; =>This Inner Loop Header: Depth=1
	s_delay_alu instid0(VALU_DEP_1) | instskip(SKIP_1) | instid1(VALU_DEP_1)
	v_and_b32_e32 v4, 1, v24
	s_mov_b32 s2, exec_lo
	v_cmpx_eq_u32_e32 1, v4
	s_cbranch_execz .LBB27_696
; %bb.698:                              ;   in Loop: Header=BB27_697 Depth=1
	v_mul_u64_e32 v[26:27], s[10:11], v[26:27]
	s_delay_alu instid0(VALU_DEP_1) | instskip(NEXT) | instid1(VALU_DEP_1)
	v_mov_b32_e32 v22, v26
	v_mul_u64_e32 v[32:33], 5, v[22:23]
	s_delay_alu instid0(VALU_DEP_1) | instskip(NEXT) | instid1(VALU_DEP_1)
	v_mov_b32_e32 v22, v33
	v_mad_nc_u64_u32 v[32:33], v27, 5, v[22:23]
	s_delay_alu instid0(VALU_DEP_1) | instskip(NEXT) | instid1(VALU_DEP_1)
	v_dual_mov_b32 v22, v33 :: v_dual_mov_b32 v33, v23
	v_mad_nc_u64_u32 v[32:33], v26, 2, v[32:33]
	s_delay_alu instid0(VALU_DEP_1) | instskip(NEXT) | instid1(VALU_DEP_1)
	v_dual_mov_b32 v32, v33 :: v_dual_mov_b32 v33, v23
	v_add_nc_u64_e32 v[32:33], v[22:23], v[32:33]
	s_delay_alu instid0(VALU_DEP_1) | instskip(NEXT) | instid1(VALU_DEP_1)
	v_mad_nc_u64_u32 v[32:33], v27, 2, v[32:33]
	v_sub_nc_u64_e32 v[34:35], v[26:27], v[32:33]
	s_delay_alu instid0(VALU_DEP_1) | instskip(NEXT) | instid1(VALU_DEP_1)
	v_lshrrev_b64 v[34:35], 1, v[34:35]
	v_add_nc_u64_e32 v[32:33], v[34:35], v[32:33]
	s_delay_alu instid0(VALU_DEP_1) | instskip(NEXT) | instid1(VALU_DEP_1)
	v_lshrrev_b64 v[32:33], 30, v[32:33]
	v_mul_u64_e32 v[32:33], 0x7fffffff, v[32:33]
	s_delay_alu instid0(VALU_DEP_1)
	v_sub_nc_u64_e32 v[26:27], v[26:27], v[32:33]
	s_branch .LBB27_696
.LBB27_699:
	s_or_b32 exec_lo, exec_lo, s13
	v_add_min_u32_e64 v1, 0x80000001, v48, v48
	s_delay_alu instid0(VALU_DEP_1)
	v_add_min_u32_e64 v37, 0x80000001, v1, v1
.LBB27_700:
	s_or_b32 exec_lo, exec_lo, s1
	v_mov_b32_e32 v1, 0
	s_movk_i32 s3, 0x1388
	s_brev_b32 s4, 12
.LBB27_701:                             ; =>This Inner Loop Header: Depth=1
	v_mul_hi_u32 v36, 0xbc8f1391, v37
	s_add_co_i32 s3, s3, -2
	s_delay_alu instid0(VALU_DEP_2) | instskip(SKIP_1) | instid1(VALU_DEP_2)
	v_add_f32_e32 v54, 1.0, v1
	s_cmp_lg_u32 s3, 0
	v_lshrrev_b32_e32 v36, 15, v36
	s_delay_alu instid0(VALU_DEP_1) | instskip(NEXT) | instid1(VALU_DEP_1)
	v_mul_u32_u24_e32 v38, 0xadc8, v36
	v_sub_nc_u32_e32 v37, v37, v38
	v_mul_u32_u24_e32 v36, 0xd47, v36
	s_delay_alu instid0(VALU_DEP_2) | instskip(NEXT) | instid1(VALU_DEP_2)
	v_mul_lo_u32 v37, 0xbc8f, v37
	v_xor_b32_e32 v38, 0x7fffffff, v36
	v_sub_nc_u32_e32 v39, 0, v36
	s_delay_alu instid0(VALU_DEP_3) | instskip(NEXT) | instid1(VALU_DEP_2)
	v_cmp_lt_u32_e32 vcc_lo, v37, v36
	v_cndmask_b32_e32 v36, v39, v38, vcc_lo
	s_delay_alu instid0(VALU_DEP_1) | instskip(NEXT) | instid1(VALU_DEP_1)
	v_add_nc_u32_e32 v36, v36, v37
	v_mul_hi_u32 v37, 0xbc8f1391, v36
	s_delay_alu instid0(VALU_DEP_1) | instskip(NEXT) | instid1(VALU_DEP_1)
	v_lshrrev_b32_e32 v37, 15, v37
	v_mul_u32_u24_e32 v38, 0xadc8, v37
	v_mul_u32_u24_e32 v37, 0xd47, v37
	s_delay_alu instid0(VALU_DEP_1) | instskip(SKIP_2) | instid1(VALU_DEP_3)
	v_dual_sub_nc_u32 v38, v36, v38 :: v_dual_sub_nc_u32 v48, 0, v37
	v_xor_b32_e32 v39, 0x7fffffff, v37
	v_add_nc_u32_e32 v36, -1, v36
	v_mul_lo_u32 v38, 0xbc8f, v38
	s_delay_alu instid0(VALU_DEP_1) | instskip(NEXT) | instid1(VALU_DEP_4)
	v_cmp_lt_u32_e32 vcc_lo, v38, v37
	v_cndmask_b32_e32 v37, v48, v39, vcc_lo
	s_delay_alu instid0(VALU_DEP_1) | instskip(NEXT) | instid1(VALU_DEP_1)
	v_add_nc_u32_e32 v37, v37, v38
	v_mul_hi_u32 v38, 0xbc8f1391, v37
	s_delay_alu instid0(VALU_DEP_1) | instskip(NEXT) | instid1(VALU_DEP_1)
	v_lshrrev_b32_e32 v38, 15, v38
	v_mul_u32_u24_e32 v39, 0xadc8, v38
	v_mul_u32_u24_e32 v38, 0xd47, v38
	s_delay_alu instid0(VALU_DEP_1) | instskip(SKIP_2) | instid1(VALU_DEP_3)
	v_dual_sub_nc_u32 v49, 0, v38 :: v_dual_sub_nc_u32 v39, v37, v39
	v_xor_b32_e32 v48, 0x7fffffff, v38
	v_add_nc_u32_e32 v37, -1, v37
	v_mul_lo_u32 v39, 0xbc8f, v39
	s_delay_alu instid0(VALU_DEP_1) | instskip(NEXT) | instid1(VALU_DEP_4)
	v_cmp_lt_u32_e32 vcc_lo, v39, v38
	v_cndmask_b32_e32 v38, v49, v48, vcc_lo
	s_delay_alu instid0(VALU_DEP_1) | instskip(NEXT) | instid1(VALU_DEP_1)
	v_add_nc_u32_e32 v48, v38, v39
	v_mul_hi_u32 v38, 0xbc8f1391, v48
	s_delay_alu instid0(VALU_DEP_1) | instskip(NEXT) | instid1(VALU_DEP_1)
	v_lshrrev_b32_e32 v38, 15, v38
	v_mul_u32_u24_e32 v39, 0xadc8, v38
	s_delay_alu instid0(VALU_DEP_1) | instskip(NEXT) | instid1(VALU_DEP_1)
	v_sub_nc_u32_e32 v39, v48, v39
	v_mul_lo_u32 v49, 0xbc8f, v39
	v_mul_u32_u24_e32 v39, 0xd47, v38
	v_cvt_f32_u32_e32 v38, v36
	s_delay_alu instid0(VALU_DEP_2) | instskip(SKIP_3) | instid1(VALU_DEP_3)
	v_xor_b32_e32 v36, 0x7fffffff, v39
	v_sub_nc_u32_e32 v55, 0, v39
	v_cmp_lt_u32_e32 vcc_lo, v49, v39
	v_cvt_f32_u32_e32 v39, v37
	v_cndmask_b32_e32 v36, v55, v36, vcc_lo
	s_delay_alu instid0(VALU_DEP_2) | instskip(NEXT) | instid1(VALU_DEP_2)
	v_pk_fma_f32 v[38:39], v[38:39], s[4:5], 0 op_sel_hi:[1,0,0]
	v_dual_add_nc_u32 v37, v36, v49 :: v_dual_add_nc_u32 v36, -1, v48
	s_delay_alu instid0(VALU_DEP_2) | instskip(NEXT) | instid1(VALU_DEP_2)
	v_pk_mul_f32 v[38:39], v[38:39], v[38:39]
	v_add_nc_u32_e32 v49, -1, v37
	s_delay_alu instid0(VALU_DEP_3) | instskip(NEXT) | instid1(VALU_DEP_3)
	v_cvt_f32_u32_e32 v48, v36
	v_add_f32_e32 v36, v38, v39
	s_delay_alu instid0(VALU_DEP_3) | instskip(NEXT) | instid1(VALU_DEP_2)
	v_cvt_f32_u32_e32 v49, v49
	v_cmp_gt_f32_e32 vcc_lo, 0xf800000, v36
	s_delay_alu instid0(VALU_DEP_2) | instskip(SKIP_1) | instid1(VALU_DEP_2)
	v_pk_fma_f32 v[38:39], v[48:49], s[4:5], 0 op_sel_hi:[1,0,0]
	v_mul_f32_e32 v48, 0x4f800000, v36
	v_pk_mul_f32 v[38:39], v[38:39], v[38:39]
	s_delay_alu instid0(VALU_DEP_1) | instskip(NEXT) | instid1(VALU_DEP_1)
	v_add_f32_e32 v38, v38, v39
	v_cmp_gt_f32_e64 s1, 0xf800000, v38
	s_delay_alu instid0(VALU_DEP_4) | instskip(SKIP_1) | instid1(VALU_DEP_1)
	v_cndmask_b32_e32 v36, v36, v48, vcc_lo
	v_mul_f32_e32 v48, 0x4f800000, v38
	v_cndmask_b32_e64 v38, v38, v48, s1
	s_delay_alu instid0(VALU_DEP_3) | instskip(NEXT) | instid1(VALU_DEP_1)
	v_sqrt_f32_e32 v39, v36
	v_sqrt_f32_e32 v64, v38
	s_delay_alu instid0(TRANS32_DEP_2) | instskip(NEXT) | instid1(VALU_DEP_1)
	v_dual_add_nc_u32 v49, -1, v39 :: v_dual_add_nc_u32 v48, 1, v39
	v_fma_f32 v55, -v49, v39, v36
	s_delay_alu instid0(VALU_DEP_1) | instskip(NEXT) | instid1(VALU_DEP_1)
	v_cmp_ge_f32_e64 s2, 0, v55
	v_dual_fma_f32 v65, -v48, v39, v36 :: v_dual_cndmask_b32 v39, v39, v49, s2
	s_delay_alu instid0(VALU_DEP_1) | instskip(NEXT) | instid1(TRANS32_DEP_1)
	v_cmp_lt_f32_e64 s2, 0, v65
	v_add_nc_u32_e32 v49, -1, v64
	s_delay_alu instid0(VALU_DEP_2) | instskip(NEXT) | instid1(VALU_DEP_2)
	v_cndmask_b32_e64 v39, v39, v48, s2
	v_dual_add_nc_u32 v48, 1, v64 :: v_dual_fma_f32 v55, -v49, v64, v38
	s_delay_alu instid0(VALU_DEP_1) | instskip(NEXT) | instid1(VALU_DEP_1)
	v_cmp_ge_f32_e64 s2, 0, v55
	v_cndmask_b32_e64 v49, v64, v49, s2
	s_delay_alu instid0(VALU_DEP_4) | instskip(NEXT) | instid1(VALU_DEP_1)
	v_mul_f32_e32 v65, 0x37800000, v39
	v_cndmask_b32_e32 v39, v39, v65, vcc_lo
	v_cmp_class_f32_e64 vcc_lo, v36, 0x260
	s_delay_alu instid0(VALU_DEP_2) | instskip(NEXT) | instid1(VALU_DEP_1)
	v_cndmask_b32_e32 v36, v39, v36, vcc_lo
	v_cmp_nge_f32_e32 vcc_lo, 1.0, v36
	s_delay_alu instid0(VALU_DEP_3) | instskip(NEXT) | instid1(VALU_DEP_1)
	v_dual_fma_f32 v66, -v48, v64, v38 :: v_dual_cndmask_b32 v1, v54, v1, vcc_lo
	v_cmp_lt_f32_e64 s2, 0, v66
	v_cmp_class_f32_e64 vcc_lo, v38, 0x260
	s_delay_alu instid0(VALU_DEP_2) | instskip(NEXT) | instid1(VALU_DEP_1)
	v_cndmask_b32_e64 v48, v49, v48, s2
	v_mul_f32_e32 v39, 0x37800000, v48
	s_delay_alu instid0(VALU_DEP_1) | instskip(NEXT) | instid1(VALU_DEP_1)
	v_dual_cndmask_b32 v36, v48, v39, s1 :: v_dual_add_f32 v39, 1.0, v1
	v_cndmask_b32_e32 v36, v36, v38, vcc_lo
	s_delay_alu instid0(VALU_DEP_1) | instskip(NEXT) | instid1(VALU_DEP_3)
	v_cmp_nge_f32_e32 vcc_lo, 1.0, v36
	v_cndmask_b32_e32 v1, v39, v1, vcc_lo
	s_cbranch_scc1 .LBB27_701
; %bb.702:
	s_delay_alu instid0(VALU_DEP_1) | instskip(NEXT) | instid1(VALU_DEP_1)
	v_mul_f32_e32 v1, 4.0, v1
	v_div_scale_f32 v36, null, 0x459c4000, 0x459c4000, v1
	s_delay_alu instid0(VALU_DEP_1) | instskip(SKIP_1) | instid1(TRANS32_DEP_1)
	v_rcp_f32_e32 v37, v36
	v_nop
	v_fma_f32 v38, -v36, v37, 1.0
	s_delay_alu instid0(VALU_DEP_1) | instskip(SKIP_1) | instid1(VALU_DEP_1)
	v_fmac_f32_e32 v37, v38, v37
	v_div_scale_f32 v38, vcc_lo, v1, 0x459c4000, v1
	v_mul_f32_e32 v39, v38, v37
	s_delay_alu instid0(VALU_DEP_1) | instskip(NEXT) | instid1(VALU_DEP_1)
	v_fma_f32 v48, -v36, v39, v38
	v_fmac_f32_e32 v39, v48, v37
	s_delay_alu instid0(VALU_DEP_1) | instskip(NEXT) | instid1(VALU_DEP_1)
	v_fma_f32 v36, -v36, v39, v38
	v_div_fmas_f32 v36, v36, v37, v39
	s_delay_alu instid0(VALU_DEP_1)
	v_div_fixup_f32 v1, v36, 0x459c4000, v1
.LBB27_703:
	s_or_b32 exec_lo, exec_lo, s12
	v_add_nc_u32_e32 v36, 0x200, v50
	s_delay_alu instid0(VALU_DEP_1)
	v_cmp_lt_u32_e64 s1, v36, v52
	s_and_saveexec_b32 s12, s1
	s_cbranch_execz .LBB27_743
; %bb.704:
	v_dual_mov_b32 v37, 1 :: v_dual_add_nc_u32 v2, v53, v36
	s_mov_b32 s3, 0
	s_mov_b32 s13, exec_lo
	s_delay_alu instid0(VALU_DEP_1) | instskip(NEXT) | instid1(VALU_DEP_1)
	v_mul_lo_u32 v36, 0x1388, v2
	v_cmpx_ne_u32_e32 0, v36
	s_cbranch_execz .LBB27_740
; %bb.705:
	v_mov_b32_e32 v37, 0
	v_mov_b64_e32 v[48:49], 1
	s_mov_b64 s[10:11], 0xbc8f
	s_mov_b64 s[4:5], 0xfffffffd
	;; [unrolled: 1-line block ×3, first 2 shown]
	v_mov_b64_e32 v[38:39], v[36:37]
	s_mov_b64 s[8:9], 0x80000001
	s_mov_b32 s14, 0
	s_branch .LBB27_707
.LBB27_706:                             ;   in Loop: Header=BB27_707 Depth=1
	s_or_b32 exec_lo, exec_lo, s2
	s_mul_u64 s[10:11], s[10:11], s[10:11]
	s_mov_b32 s17, s3
	s_and_b64 s[18:19], s[10:11], s[4:5]
	s_mov_b32 s2, s11
	s_mul_u64 s[20:21], s[18:19], 3
	s_mul_u64 s[22:23], s[2:3], 3
	s_mov_b32 s16, s21
	s_mul_u64 s[18:19], s[18:19], s[8:9]
	s_add_nc_u64 s[16:17], s[22:23], s[16:17]
	v_lshrrev_b64 v[54:55], 1, v[38:39]
	s_and_b64 s[22:23], s[16:17], s[6:7]
	s_mov_b32 s21, s3
	s_add_nc_u64 s[18:19], s[18:19], s[22:23]
	s_mov_b32 s25, s3
	s_mov_b32 s20, s17
	;; [unrolled: 1-line block ×3, first 2 shown]
	s_mul_u64 s[18:19], s[2:3], s[8:9]
	s_add_nc_u64 s[16:17], s[20:21], s[24:25]
	v_cmp_gt_u64_e32 vcc_lo, 2, v[38:39]
	s_add_nc_u64 s[16:17], s[18:19], s[16:17]
	v_mov_b64_e32 v[38:39], v[54:55]
	s_lshr_b64 s[16:17], s[16:17], 30
	s_delay_alu instid0(SALU_CYCLE_1)
	s_mul_u64 s[16:17], s[16:17], 0x7fffffff
	s_or_b32 s14, vcc_lo, s14
	s_sub_nc_u64 s[10:11], s[10:11], s[16:17]
	s_and_not1_b32 exec_lo, exec_lo, s14
	s_cbranch_execz .LBB27_739
.LBB27_707:                             ; =>This Inner Loop Header: Depth=1
	s_delay_alu instid0(VALU_DEP_1) | instskip(SKIP_1) | instid1(VALU_DEP_1)
	v_and_b32_e32 v2, 1, v38
	s_mov_b32 s2, exec_lo
	v_cmpx_eq_u32_e32 1, v2
	s_cbranch_execz .LBB27_706
; %bb.708:                              ;   in Loop: Header=BB27_707 Depth=1
	v_mul_u64_e32 v[48:49], s[10:11], v[48:49]
	s_delay_alu instid0(VALU_DEP_1) | instskip(NEXT) | instid1(VALU_DEP_1)
	v_mov_b32_e32 v36, v48
	v_mul_u64_e32 v[54:55], 5, v[36:37]
	s_delay_alu instid0(VALU_DEP_1) | instskip(NEXT) | instid1(VALU_DEP_1)
	v_mov_b32_e32 v36, v55
	v_mad_nc_u64_u32 v[54:55], v49, 5, v[36:37]
	s_delay_alu instid0(VALU_DEP_1) | instskip(NEXT) | instid1(VALU_DEP_1)
	v_dual_mov_b32 v36, v55 :: v_dual_mov_b32 v55, v37
	v_mad_nc_u64_u32 v[54:55], v48, 2, v[54:55]
	s_delay_alu instid0(VALU_DEP_1) | instskip(NEXT) | instid1(VALU_DEP_1)
	v_dual_mov_b32 v54, v55 :: v_dual_mov_b32 v55, v37
	v_add_nc_u64_e32 v[54:55], v[36:37], v[54:55]
	s_delay_alu instid0(VALU_DEP_1) | instskip(NEXT) | instid1(VALU_DEP_1)
	v_mad_nc_u64_u32 v[54:55], v49, 2, v[54:55]
	v_sub_nc_u64_e32 v[64:65], v[48:49], v[54:55]
	s_delay_alu instid0(VALU_DEP_1) | instskip(NEXT) | instid1(VALU_DEP_1)
	v_lshrrev_b64 v[64:65], 1, v[64:65]
	v_add_nc_u64_e32 v[54:55], v[64:65], v[54:55]
	s_delay_alu instid0(VALU_DEP_1) | instskip(NEXT) | instid1(VALU_DEP_1)
	v_lshrrev_b64 v[54:55], 30, v[54:55]
	v_mul_u64_e32 v[54:55], 0x7fffffff, v[54:55]
	s_delay_alu instid0(VALU_DEP_1)
	v_sub_nc_u64_e32 v[48:49], v[48:49], v[54:55]
	s_branch .LBB27_706
.LBB27_709:
	s_or_b32 exec_lo, exec_lo, s18
	v_add_min_u32_e64 v4, 0x80000001, v14, v14
	s_delay_alu instid0(VALU_DEP_1)
	v_add_min_u32_e64 v11, 0x80000001, v4, v4
.LBB27_710:
	s_or_b32 exec_lo, exec_lo, s15
	v_mov_b32_e32 v4, 0
	s_movk_i32 s5, 0x1388
	s_brev_b32 s4, 12
.LBB27_711:                             ; =>This Inner Loop Header: Depth=1
	v_mul_hi_u32 v10, 0xbc8f1391, v11
	s_delay_alu instid0(VALU_DEP_1) | instskip(NEXT) | instid1(VALU_DEP_1)
	v_dual_add_f32 v19, 1.0, v4 :: v_dual_lshrrev_b32 v10, 15, v10
	v_mul_u32_u24_e32 v12, 0xadc8, v10
	s_delay_alu instid0(VALU_DEP_1) | instskip(SKIP_1) | instid1(VALU_DEP_2)
	v_sub_nc_u32_e32 v11, v11, v12
	v_mul_u32_u24_e32 v10, 0xd47, v10
	v_mul_lo_u32 v11, 0xbc8f, v11
	s_delay_alu instid0(VALU_DEP_2) | instskip(SKIP_1) | instid1(VALU_DEP_3)
	v_xor_b32_e32 v12, 0x7fffffff, v10
	v_sub_nc_u32_e32 v13, 0, v10
	v_cmp_lt_u32_e32 vcc_lo, v11, v10
	s_delay_alu instid0(VALU_DEP_2) | instskip(NEXT) | instid1(VALU_DEP_1)
	v_cndmask_b32_e32 v10, v13, v12, vcc_lo
	v_add_nc_u32_e32 v10, v10, v11
	s_delay_alu instid0(VALU_DEP_1) | instskip(NEXT) | instid1(VALU_DEP_1)
	v_mul_hi_u32 v11, 0xbc8f1391, v10
	v_lshrrev_b32_e32 v11, 15, v11
	s_delay_alu instid0(VALU_DEP_1) | instskip(SKIP_1) | instid1(VALU_DEP_1)
	v_mul_u32_u24_e32 v12, 0xadc8, v11
	v_mul_u32_u24_e32 v11, 0xd47, v11
	v_dual_sub_nc_u32 v12, v10, v12 :: v_dual_sub_nc_u32 v14, 0, v11
	v_xor_b32_e32 v13, 0x7fffffff, v11
	v_add_nc_u32_e32 v10, -1, v10
	s_delay_alu instid0(VALU_DEP_3) | instskip(NEXT) | instid1(VALU_DEP_1)
	v_mul_lo_u32 v12, 0xbc8f, v12
	v_cmp_lt_u32_e32 vcc_lo, v12, v11
	s_delay_alu instid0(VALU_DEP_4) | instskip(NEXT) | instid1(VALU_DEP_1)
	v_cndmask_b32_e32 v11, v14, v13, vcc_lo
	v_add_nc_u32_e32 v11, v11, v12
	s_delay_alu instid0(VALU_DEP_1) | instskip(NEXT) | instid1(VALU_DEP_1)
	v_mul_hi_u32 v12, 0xbc8f1391, v11
	v_lshrrev_b32_e32 v12, 15, v12
	s_delay_alu instid0(VALU_DEP_1) | instskip(SKIP_1) | instid1(VALU_DEP_1)
	v_mul_u32_u24_e32 v13, 0xadc8, v12
	v_mul_u32_u24_e32 v12, 0xd47, v12
	v_dual_sub_nc_u32 v15, 0, v12 :: v_dual_sub_nc_u32 v13, v11, v13
	v_xor_b32_e32 v14, 0x7fffffff, v12
	v_add_nc_u32_e32 v11, -1, v11
	s_delay_alu instid0(VALU_DEP_3) | instskip(NEXT) | instid1(VALU_DEP_1)
	v_mul_lo_u32 v13, 0xbc8f, v13
	v_cmp_lt_u32_e32 vcc_lo, v13, v12
	s_delay_alu instid0(VALU_DEP_4) | instskip(NEXT) | instid1(VALU_DEP_1)
	v_cndmask_b32_e32 v12, v15, v14, vcc_lo
	v_add_nc_u32_e32 v14, v12, v13
	s_delay_alu instid0(VALU_DEP_1) | instskip(NEXT) | instid1(VALU_DEP_1)
	v_mul_hi_u32 v12, 0xbc8f1391, v14
	v_lshrrev_b32_e32 v12, 15, v12
	s_delay_alu instid0(VALU_DEP_1) | instskip(NEXT) | instid1(VALU_DEP_1)
	v_mul_u32_u24_e32 v13, 0xadc8, v12
	v_sub_nc_u32_e32 v13, v14, v13
	s_delay_alu instid0(VALU_DEP_1) | instskip(SKIP_2) | instid1(VALU_DEP_2)
	v_mul_lo_u32 v15, 0xbc8f, v13
	v_mul_u32_u24_e32 v13, 0xd47, v12
	v_cvt_f32_u32_e32 v12, v10
	v_xor_b32_e32 v10, 0x7fffffff, v13
	v_sub_nc_u32_e32 v20, 0, v13
	v_cmp_lt_u32_e32 vcc_lo, v15, v13
	v_cvt_f32_u32_e32 v13, v11
	s_delay_alu instid0(VALU_DEP_3) | instskip(NEXT) | instid1(VALU_DEP_2)
	v_cndmask_b32_e32 v10, v20, v10, vcc_lo
	v_pk_fma_f32 v[12:13], v[12:13], s[4:5], 0 op_sel_hi:[1,0,0]
	s_delay_alu instid0(VALU_DEP_2) | instskip(NEXT) | instid1(VALU_DEP_2)
	v_dual_add_nc_u32 v11, v10, v15 :: v_dual_add_nc_u32 v10, -1, v14
	v_pk_mul_f32 v[12:13], v[12:13], v[12:13]
	s_delay_alu instid0(VALU_DEP_2) | instskip(NEXT) | instid1(VALU_DEP_3)
	v_add_nc_u32_e32 v15, -1, v11
	v_cvt_f32_u32_e32 v14, v10
	s_delay_alu instid0(VALU_DEP_3) | instskip(NEXT) | instid1(VALU_DEP_3)
	v_add_f32_e32 v10, v12, v13
	v_cvt_f32_u32_e32 v15, v15
	s_delay_alu instid0(VALU_DEP_2) | instskip(NEXT) | instid1(VALU_DEP_2)
	v_cmp_gt_f32_e32 vcc_lo, 0xf800000, v10
	v_pk_fma_f32 v[12:13], v[14:15], s[4:5], 0 op_sel_hi:[1,0,0]
	v_mul_f32_e32 v14, 0x4f800000, v10
	s_add_co_i32 s5, s5, -2
	s_delay_alu instid0(SALU_CYCLE_1) | instskip(NEXT) | instid1(VALU_DEP_2)
	s_cmp_lg_u32 s5, 0
	v_pk_mul_f32 v[12:13], v[12:13], v[12:13]
	s_delay_alu instid0(VALU_DEP_1) | instskip(NEXT) | instid1(VALU_DEP_1)
	v_add_f32_e32 v12, v12, v13
	v_cmp_gt_f32_e64 s2, 0xf800000, v12
	v_cndmask_b32_e32 v10, v10, v14, vcc_lo
	v_mul_f32_e32 v14, 0x4f800000, v12
	s_delay_alu instid0(VALU_DEP_1) | instskip(NEXT) | instid1(VALU_DEP_3)
	v_cndmask_b32_e64 v12, v12, v14, s2
	v_sqrt_f32_e32 v13, v10
	s_delay_alu instid0(VALU_DEP_1) | instskip(NEXT) | instid1(TRANS32_DEP_2)
	v_sqrt_f32_e32 v21, v12
	v_dual_add_nc_u32 v15, -1, v13 :: v_dual_add_nc_u32 v14, 1, v13
	s_delay_alu instid0(VALU_DEP_1) | instskip(NEXT) | instid1(VALU_DEP_1)
	v_fma_f32 v20, -v15, v13, v10
	v_cmp_ge_f32_e64 s3, 0, v20
	s_delay_alu instid0(VALU_DEP_1) | instskip(NEXT) | instid1(VALU_DEP_1)
	v_dual_fma_f32 v22, -v14, v13, v10 :: v_dual_cndmask_b32 v13, v13, v15, s3
	v_cmp_lt_f32_e64 s3, 0, v22
	s_delay_alu instid0(TRANS32_DEP_1) | instid1(VALU_DEP_1)
	v_dual_add_nc_u32 v15, -1, v21 :: v_dual_cndmask_b32 v13, v13, v14, s3
	s_delay_alu instid0(VALU_DEP_1) | instskip(NEXT) | instid1(VALU_DEP_1)
	v_dual_add_nc_u32 v14, 1, v21 :: v_dual_fma_f32 v20, -v15, v21, v12
	v_fma_f32 v23, -v14, v21, v12
	s_delay_alu instid0(VALU_DEP_2) | instskip(NEXT) | instid1(VALU_DEP_1)
	v_cmp_ge_f32_e64 s3, 0, v20
	v_cndmask_b32_e64 v15, v21, v15, s3
	s_delay_alu instid0(VALU_DEP_3) | instskip(NEXT) | instid1(VALU_DEP_1)
	v_cmp_lt_f32_e64 s3, 0, v23
	v_cndmask_b32_e64 v14, v15, v14, s3
	v_mul_f32_e32 v22, 0x37800000, v13
	s_delay_alu instid0(VALU_DEP_1) | instskip(SKIP_1) | instid1(VALU_DEP_2)
	v_cndmask_b32_e32 v13, v13, v22, vcc_lo
	v_cmp_class_f32_e64 vcc_lo, v10, 0x260
	v_cndmask_b32_e32 v10, v13, v10, vcc_lo
	v_mul_f32_e32 v13, 0x37800000, v14
	s_delay_alu instid0(VALU_DEP_2) | instskip(NEXT) | instid1(VALU_DEP_2)
	v_cmp_nge_f32_e32 vcc_lo, 1.0, v10
	v_dual_cndmask_b32 v10, v14, v13, s2 :: v_dual_cndmask_b32 v4, v19, v4, vcc_lo
	v_cmp_class_f32_e64 vcc_lo, v12, 0x260
	s_delay_alu instid0(VALU_DEP_2) | instskip(NEXT) | instid1(VALU_DEP_3)
	v_add_f32_e32 v13, 1.0, v4
	v_cndmask_b32_e32 v10, v10, v12, vcc_lo
	s_delay_alu instid0(VALU_DEP_1) | instskip(NEXT) | instid1(VALU_DEP_3)
	v_cmp_nge_f32_e32 vcc_lo, 1.0, v10
	v_cndmask_b32_e32 v4, v13, v4, vcc_lo
	s_cbranch_scc1 .LBB27_711
; %bb.712:
	s_delay_alu instid0(VALU_DEP_1) | instskip(NEXT) | instid1(VALU_DEP_1)
	v_mul_f32_e32 v4, 4.0, v4
	v_div_scale_f32 v10, null, 0x459c4000, 0x459c4000, v4
	s_delay_alu instid0(VALU_DEP_1) | instskip(SKIP_1) | instid1(TRANS32_DEP_1)
	v_rcp_f32_e32 v11, v10
	v_nop
	v_fma_f32 v12, -v10, v11, 1.0
	s_delay_alu instid0(VALU_DEP_1) | instskip(SKIP_1) | instid1(VALU_DEP_1)
	v_fmac_f32_e32 v11, v12, v11
	v_div_scale_f32 v12, vcc_lo, v4, 0x459c4000, v4
	v_mul_f32_e32 v13, v12, v11
	s_delay_alu instid0(VALU_DEP_1) | instskip(NEXT) | instid1(VALU_DEP_1)
	v_fma_f32 v14, -v10, v13, v12
	v_fmac_f32_e32 v13, v14, v11
	s_delay_alu instid0(VALU_DEP_1) | instskip(NEXT) | instid1(VALU_DEP_1)
	v_fma_f32 v10, -v10, v13, v12
	v_div_fmas_f32 v10, v10, v11, v13
	s_delay_alu instid0(VALU_DEP_1)
	v_div_fixup_f32 v4, v10, 0x459c4000, v4
.LBB27_713:
	s_or_b32 exec_lo, exec_lo, s14
	v_add_nc_u32_e32 v10, 0x300, v50
	s_delay_alu instid0(VALU_DEP_1)
	v_cmp_lt_u32_e64 s2, v10, v17
	s_and_saveexec_b32 s18, s2
	s_cbranch_execz .LBB27_753
; %bb.714:
	v_dual_add_nc_u32 v3, v18, v10 :: v_dual_mov_b32 v11, 1
	s_mov_b32 s5, 0
	s_mov_b32 s3, exec_lo
	s_delay_alu instid0(VALU_DEP_1) | instskip(NEXT) | instid1(VALU_DEP_1)
	v_mul_lo_u32 v10, 0x1388, v3
	v_cmpx_ne_u32_e32 0, v10
	s_cbranch_execz .LBB27_750
; %bb.715:
	v_mov_b32_e32 v11, 0
	v_mov_b64_e32 v[14:15], 1
	s_mov_b64 s[14:15], 0xbc8f
	s_mov_b64 s[8:9], 0xfffffffd
	;; [unrolled: 1-line block ×3, first 2 shown]
	v_mov_b64_e32 v[12:13], v[10:11]
	s_mov_b64 s[12:13], 0x80000001
	s_mov_b32 s19, 0
	s_branch .LBB27_717
.LBB27_716:                             ;   in Loop: Header=BB27_717 Depth=1
	s_or_b32 exec_lo, exec_lo, s4
	s_mul_u64 s[14:15], s[14:15], s[14:15]
	s_mov_b32 s21, s5
	s_and_b64 s[22:23], s[14:15], s[8:9]
	s_mov_b32 s4, s15
	s_mul_u64 s[24:25], s[22:23], 3
	s_mul_u64 s[26:27], s[4:5], 3
	s_mov_b32 s20, s25
	s_mul_u64 s[22:23], s[22:23], s[12:13]
	s_add_nc_u64 s[20:21], s[26:27], s[20:21]
	v_lshrrev_b64 v[18:19], 1, v[12:13]
	s_and_b64 s[26:27], s[20:21], s[10:11]
	s_mov_b32 s25, s5
	s_add_nc_u64 s[22:23], s[22:23], s[26:27]
	s_mov_b32 s41, s5
	s_mov_b32 s24, s21
	;; [unrolled: 1-line block ×3, first 2 shown]
	s_mul_u64 s[22:23], s[4:5], s[12:13]
	s_add_nc_u64 s[20:21], s[24:25], s[40:41]
	v_cmp_gt_u64_e32 vcc_lo, 2, v[12:13]
	s_add_nc_u64 s[20:21], s[22:23], s[20:21]
	v_mov_b64_e32 v[12:13], v[18:19]
	s_lshr_b64 s[20:21], s[20:21], 30
	s_delay_alu instid0(SALU_CYCLE_1)
	s_mul_u64 s[20:21], s[20:21], 0x7fffffff
	s_or_b32 s19, vcc_lo, s19
	s_sub_nc_u64 s[14:15], s[14:15], s[20:21]
	s_and_not1_b32 exec_lo, exec_lo, s19
	s_cbranch_execz .LBB27_749
.LBB27_717:                             ; =>This Inner Loop Header: Depth=1
	s_delay_alu instid0(VALU_DEP_1) | instskip(SKIP_1) | instid1(VALU_DEP_1)
	v_and_b32_e32 v3, 1, v12
	s_mov_b32 s4, exec_lo
	v_cmpx_eq_u32_e32 1, v3
	s_cbranch_execz .LBB27_716
; %bb.718:                              ;   in Loop: Header=BB27_717 Depth=1
	v_mul_u64_e32 v[14:15], s[14:15], v[14:15]
	s_delay_alu instid0(VALU_DEP_1) | instskip(NEXT) | instid1(VALU_DEP_1)
	v_mov_b32_e32 v10, v14
	v_mul_u64_e32 v[18:19], 5, v[10:11]
	s_delay_alu instid0(VALU_DEP_1) | instskip(NEXT) | instid1(VALU_DEP_1)
	v_mov_b32_e32 v10, v19
	v_mad_nc_u64_u32 v[18:19], v15, 5, v[10:11]
	s_delay_alu instid0(VALU_DEP_1) | instskip(NEXT) | instid1(VALU_DEP_1)
	v_dual_mov_b32 v10, v19 :: v_dual_mov_b32 v19, v11
	v_mad_nc_u64_u32 v[18:19], v14, 2, v[18:19]
	s_delay_alu instid0(VALU_DEP_1) | instskip(NEXT) | instid1(VALU_DEP_1)
	v_dual_mov_b32 v18, v19 :: v_dual_mov_b32 v19, v11
	v_add_nc_u64_e32 v[18:19], v[10:11], v[18:19]
	s_delay_alu instid0(VALU_DEP_1) | instskip(NEXT) | instid1(VALU_DEP_1)
	v_mad_nc_u64_u32 v[18:19], v15, 2, v[18:19]
	v_sub_nc_u64_e32 v[20:21], v[14:15], v[18:19]
	s_delay_alu instid0(VALU_DEP_1) | instskip(NEXT) | instid1(VALU_DEP_1)
	v_lshrrev_b64 v[20:21], 1, v[20:21]
	v_add_nc_u64_e32 v[18:19], v[20:21], v[18:19]
	s_delay_alu instid0(VALU_DEP_1) | instskip(NEXT) | instid1(VALU_DEP_1)
	v_lshrrev_b64 v[18:19], 30, v[18:19]
	v_mul_u64_e32 v[18:19], 0x7fffffff, v[18:19]
	s_delay_alu instid0(VALU_DEP_1)
	v_sub_nc_u64_e32 v[14:15], v[14:15], v[18:19]
	s_branch .LBB27_716
.LBB27_719:
	s_or_b32 exec_lo, exec_lo, s16
	v_add_min_u32_e64 v4, 0x80000001, v18, v18
	s_delay_alu instid0(VALU_DEP_1)
	v_add_min_u32_e64 v15, 0x80000001, v4, v4
.LBB27_720:
	s_or_b32 exec_lo, exec_lo, s15
	v_mov_b32_e32 v4, 0
	s_movk_i32 s5, 0x1388
	s_brev_b32 s4, 12
.LBB27_721:                             ; =>This Inner Loop Header: Depth=1
	v_mul_hi_u32 v14, 0xbc8f1391, v15
	s_delay_alu instid0(VALU_DEP_1) | instskip(NEXT) | instid1(VALU_DEP_1)
	v_dual_add_f32 v23, 1.0, v4 :: v_dual_lshrrev_b32 v14, 15, v14
	v_mul_u32_u24_e32 v16, 0xadc8, v14
	s_delay_alu instid0(VALU_DEP_1) | instskip(SKIP_1) | instid1(VALU_DEP_2)
	v_sub_nc_u32_e32 v15, v15, v16
	v_mul_u32_u24_e32 v14, 0xd47, v14
	v_mul_lo_u32 v15, 0xbc8f, v15
	s_delay_alu instid0(VALU_DEP_2) | instskip(SKIP_1) | instid1(VALU_DEP_3)
	v_xor_b32_e32 v16, 0x7fffffff, v14
	v_sub_nc_u32_e32 v17, 0, v14
	v_cmp_lt_u32_e32 vcc_lo, v15, v14
	s_delay_alu instid0(VALU_DEP_2) | instskip(NEXT) | instid1(VALU_DEP_1)
	v_cndmask_b32_e32 v14, v17, v16, vcc_lo
	v_add_nc_u32_e32 v14, v14, v15
	s_delay_alu instid0(VALU_DEP_1) | instskip(NEXT) | instid1(VALU_DEP_1)
	v_mul_hi_u32 v15, 0xbc8f1391, v14
	v_lshrrev_b32_e32 v15, 15, v15
	s_delay_alu instid0(VALU_DEP_1) | instskip(SKIP_1) | instid1(VALU_DEP_1)
	v_mul_u32_u24_e32 v16, 0xadc8, v15
	v_mul_u32_u24_e32 v15, 0xd47, v15
	v_dual_sub_nc_u32 v16, v14, v16 :: v_dual_sub_nc_u32 v18, 0, v15
	v_xor_b32_e32 v17, 0x7fffffff, v15
	v_add_nc_u32_e32 v14, -1, v14
	s_delay_alu instid0(VALU_DEP_3) | instskip(NEXT) | instid1(VALU_DEP_1)
	v_mul_lo_u32 v16, 0xbc8f, v16
	v_cmp_lt_u32_e32 vcc_lo, v16, v15
	s_delay_alu instid0(VALU_DEP_4) | instskip(NEXT) | instid1(VALU_DEP_1)
	v_cndmask_b32_e32 v15, v18, v17, vcc_lo
	v_add_nc_u32_e32 v15, v15, v16
	s_delay_alu instid0(VALU_DEP_1) | instskip(NEXT) | instid1(VALU_DEP_1)
	v_mul_hi_u32 v16, 0xbc8f1391, v15
	v_lshrrev_b32_e32 v16, 15, v16
	s_delay_alu instid0(VALU_DEP_1) | instskip(SKIP_1) | instid1(VALU_DEP_1)
	v_mul_u32_u24_e32 v17, 0xadc8, v16
	v_mul_u32_u24_e32 v16, 0xd47, v16
	v_dual_sub_nc_u32 v19, 0, v16 :: v_dual_sub_nc_u32 v17, v15, v17
	v_xor_b32_e32 v18, 0x7fffffff, v16
	v_add_nc_u32_e32 v15, -1, v15
	s_delay_alu instid0(VALU_DEP_3) | instskip(NEXT) | instid1(VALU_DEP_1)
	v_mul_lo_u32 v17, 0xbc8f, v17
	v_cmp_lt_u32_e32 vcc_lo, v17, v16
	s_delay_alu instid0(VALU_DEP_4) | instskip(NEXT) | instid1(VALU_DEP_1)
	v_cndmask_b32_e32 v16, v19, v18, vcc_lo
	v_add_nc_u32_e32 v18, v16, v17
	s_delay_alu instid0(VALU_DEP_1) | instskip(NEXT) | instid1(VALU_DEP_1)
	v_mul_hi_u32 v16, 0xbc8f1391, v18
	v_lshrrev_b32_e32 v16, 15, v16
	s_delay_alu instid0(VALU_DEP_1) | instskip(NEXT) | instid1(VALU_DEP_1)
	v_mul_u32_u24_e32 v17, 0xadc8, v16
	v_sub_nc_u32_e32 v17, v18, v17
	s_delay_alu instid0(VALU_DEP_1) | instskip(SKIP_2) | instid1(VALU_DEP_2)
	v_mul_lo_u32 v19, 0xbc8f, v17
	v_mul_u32_u24_e32 v17, 0xd47, v16
	v_cvt_f32_u32_e32 v16, v14
	v_xor_b32_e32 v14, 0x7fffffff, v17
	v_sub_nc_u32_e32 v24, 0, v17
	v_cmp_lt_u32_e32 vcc_lo, v19, v17
	v_cvt_f32_u32_e32 v17, v15
	s_delay_alu instid0(VALU_DEP_3) | instskip(NEXT) | instid1(VALU_DEP_2)
	v_cndmask_b32_e32 v14, v24, v14, vcc_lo
	v_pk_fma_f32 v[16:17], v[16:17], s[4:5], 0 op_sel_hi:[1,0,0]
	s_delay_alu instid0(VALU_DEP_2) | instskip(NEXT) | instid1(VALU_DEP_2)
	v_dual_add_nc_u32 v15, v14, v19 :: v_dual_add_nc_u32 v14, -1, v18
	v_pk_mul_f32 v[16:17], v[16:17], v[16:17]
	s_delay_alu instid0(VALU_DEP_2) | instskip(NEXT) | instid1(VALU_DEP_3)
	v_add_nc_u32_e32 v19, -1, v15
	v_cvt_f32_u32_e32 v18, v14
	s_delay_alu instid0(VALU_DEP_3) | instskip(NEXT) | instid1(VALU_DEP_3)
	v_add_f32_e32 v14, v16, v17
	v_cvt_f32_u32_e32 v19, v19
	s_delay_alu instid0(VALU_DEP_2) | instskip(NEXT) | instid1(VALU_DEP_2)
	v_cmp_gt_f32_e32 vcc_lo, 0xf800000, v14
	v_pk_fma_f32 v[16:17], v[18:19], s[4:5], 0 op_sel_hi:[1,0,0]
	v_mul_f32_e32 v18, 0x4f800000, v14
	s_add_co_i32 s5, s5, -2
	s_delay_alu instid0(SALU_CYCLE_1) | instskip(NEXT) | instid1(VALU_DEP_2)
	s_cmp_lg_u32 s5, 0
	v_pk_mul_f32 v[16:17], v[16:17], v[16:17]
	s_delay_alu instid0(VALU_DEP_1) | instskip(NEXT) | instid1(VALU_DEP_1)
	v_add_f32_e32 v16, v16, v17
	v_cmp_gt_f32_e64 s2, 0xf800000, v16
	v_cndmask_b32_e32 v14, v14, v18, vcc_lo
	v_mul_f32_e32 v18, 0x4f800000, v16
	s_delay_alu instid0(VALU_DEP_1) | instskip(NEXT) | instid1(VALU_DEP_3)
	v_cndmask_b32_e64 v16, v16, v18, s2
	v_sqrt_f32_e32 v17, v14
	s_delay_alu instid0(VALU_DEP_1) | instskip(NEXT) | instid1(TRANS32_DEP_2)
	v_sqrt_f32_e32 v25, v16
	v_dual_add_nc_u32 v19, -1, v17 :: v_dual_add_nc_u32 v18, 1, v17
	s_delay_alu instid0(VALU_DEP_1) | instskip(NEXT) | instid1(VALU_DEP_1)
	v_fma_f32 v24, -v19, v17, v14
	v_cmp_ge_f32_e64 s3, 0, v24
	s_delay_alu instid0(VALU_DEP_1) | instskip(NEXT) | instid1(VALU_DEP_1)
	v_dual_fma_f32 v26, -v18, v17, v14 :: v_dual_cndmask_b32 v17, v17, v19, s3
	v_cmp_lt_f32_e64 s3, 0, v26
	s_delay_alu instid0(TRANS32_DEP_1) | instid1(VALU_DEP_1)
	v_dual_add_nc_u32 v19, -1, v25 :: v_dual_cndmask_b32 v17, v17, v18, s3
	s_delay_alu instid0(VALU_DEP_1) | instskip(NEXT) | instid1(VALU_DEP_1)
	v_dual_add_nc_u32 v18, 1, v25 :: v_dual_fma_f32 v24, -v19, v25, v16
	v_fma_f32 v27, -v18, v25, v16
	s_delay_alu instid0(VALU_DEP_2) | instskip(NEXT) | instid1(VALU_DEP_1)
	v_cmp_ge_f32_e64 s3, 0, v24
	v_cndmask_b32_e64 v19, v25, v19, s3
	s_delay_alu instid0(VALU_DEP_3) | instskip(NEXT) | instid1(VALU_DEP_1)
	v_cmp_lt_f32_e64 s3, 0, v27
	v_cndmask_b32_e64 v18, v19, v18, s3
	v_mul_f32_e32 v26, 0x37800000, v17
	s_delay_alu instid0(VALU_DEP_1) | instskip(SKIP_1) | instid1(VALU_DEP_2)
	v_cndmask_b32_e32 v17, v17, v26, vcc_lo
	v_cmp_class_f32_e64 vcc_lo, v14, 0x260
	v_cndmask_b32_e32 v14, v17, v14, vcc_lo
	v_mul_f32_e32 v17, 0x37800000, v18
	s_delay_alu instid0(VALU_DEP_2) | instskip(NEXT) | instid1(VALU_DEP_2)
	v_cmp_nge_f32_e32 vcc_lo, 1.0, v14
	v_dual_cndmask_b32 v14, v18, v17, s2 :: v_dual_cndmask_b32 v4, v23, v4, vcc_lo
	v_cmp_class_f32_e64 vcc_lo, v16, 0x260
	s_delay_alu instid0(VALU_DEP_2) | instskip(NEXT) | instid1(VALU_DEP_3)
	v_add_f32_e32 v17, 1.0, v4
	v_cndmask_b32_e32 v14, v14, v16, vcc_lo
	s_delay_alu instid0(VALU_DEP_1) | instskip(NEXT) | instid1(VALU_DEP_3)
	v_cmp_nge_f32_e32 vcc_lo, 1.0, v14
	v_cndmask_b32_e32 v4, v17, v4, vcc_lo
	s_cbranch_scc1 .LBB27_721
; %bb.722:
	s_delay_alu instid0(VALU_DEP_1) | instskip(NEXT) | instid1(VALU_DEP_1)
	v_mul_f32_e32 v4, 4.0, v4
	v_div_scale_f32 v14, null, 0x459c4000, 0x459c4000, v4
	s_delay_alu instid0(VALU_DEP_1) | instskip(SKIP_1) | instid1(TRANS32_DEP_1)
	v_rcp_f32_e32 v15, v14
	v_nop
	v_fma_f32 v16, -v14, v15, 1.0
	s_delay_alu instid0(VALU_DEP_1) | instskip(SKIP_1) | instid1(VALU_DEP_1)
	v_fmac_f32_e32 v15, v16, v15
	v_div_scale_f32 v16, vcc_lo, v4, 0x459c4000, v4
	v_mul_f32_e32 v17, v16, v15
	s_delay_alu instid0(VALU_DEP_1) | instskip(NEXT) | instid1(VALU_DEP_1)
	v_fma_f32 v18, -v14, v17, v16
	v_fmac_f32_e32 v17, v18, v15
	s_delay_alu instid0(VALU_DEP_1) | instskip(NEXT) | instid1(VALU_DEP_1)
	v_fma_f32 v14, -v14, v17, v16
	v_div_fmas_f32 v14, v14, v15, v17
	s_delay_alu instid0(VALU_DEP_1)
	v_div_fixup_f32 v4, v14, 0x459c4000, v4
.LBB27_723:
	s_or_b32 exec_lo, exec_lo, s14
	v_add_nc_u32_e32 v14, 0x300, v50
	s_delay_alu instid0(VALU_DEP_1)
	v_cmp_lt_u32_e64 s2, v14, v21
	s_and_saveexec_b32 s16, s2
	s_cbranch_execz .LBB27_762
; %bb.724:
	v_dual_add_nc_u32 v5, v22, v14 :: v_dual_mov_b32 v15, 1
	s_mov_b32 s5, 0
	s_mov_b32 s3, exec_lo
	s_delay_alu instid0(VALU_DEP_1) | instskip(NEXT) | instid1(VALU_DEP_1)
	v_mul_lo_u32 v14, 0x1388, v5
	v_cmpx_ne_u32_e32 0, v14
	s_cbranch_execz .LBB27_759
; %bb.725:
	v_mov_b32_e32 v15, 0
	v_mov_b64_e32 v[18:19], 1
	s_mov_b64 s[14:15], 0xbc8f
	s_mov_b64 s[6:7], 0xfffffffd
	;; [unrolled: 1-line block ×3, first 2 shown]
	v_mov_b64_e32 v[16:17], v[14:15]
	s_mov_b64 s[12:13], 0x80000001
	s_mov_b32 s17, 0
	s_branch .LBB27_727
.LBB27_726:                             ;   in Loop: Header=BB27_727 Depth=1
	s_or_b32 exec_lo, exec_lo, s4
	s_mul_u64 s[14:15], s[14:15], s[14:15]
	s_mov_b32 s19, s5
	s_and_b64 s[22:23], s[14:15], s[6:7]
	s_mov_b32 s4, s15
	s_mul_u64 s[24:25], s[22:23], 3
	s_mul_u64 s[26:27], s[4:5], 3
	s_mov_b32 s18, s25
	s_mul_u64 s[22:23], s[22:23], s[12:13]
	s_add_nc_u64 s[18:19], s[26:27], s[18:19]
	v_lshrrev_b64 v[24:25], 1, v[16:17]
	s_and_b64 s[26:27], s[18:19], s[8:9]
	s_mov_b32 s25, s5
	s_add_nc_u64 s[22:23], s[22:23], s[26:27]
	s_mov_b32 s41, s5
	s_mov_b32 s24, s19
	;; [unrolled: 1-line block ×3, first 2 shown]
	s_mul_u64 s[22:23], s[4:5], s[12:13]
	s_add_nc_u64 s[18:19], s[24:25], s[40:41]
	v_cmp_gt_u64_e32 vcc_lo, 2, v[16:17]
	s_add_nc_u64 s[18:19], s[22:23], s[18:19]
	v_mov_b64_e32 v[16:17], v[24:25]
	s_lshr_b64 s[18:19], s[18:19], 30
	s_delay_alu instid0(SALU_CYCLE_1)
	s_mul_u64 s[18:19], s[18:19], 0x7fffffff
	s_or_b32 s17, vcc_lo, s17
	s_sub_nc_u64 s[14:15], s[14:15], s[18:19]
	s_and_not1_b32 exec_lo, exec_lo, s17
	s_cbranch_execz .LBB27_758
.LBB27_727:                             ; =>This Inner Loop Header: Depth=1
	s_delay_alu instid0(VALU_DEP_1) | instskip(SKIP_1) | instid1(VALU_DEP_1)
	v_and_b32_e32 v5, 1, v16
	s_mov_b32 s4, exec_lo
	v_cmpx_eq_u32_e32 1, v5
	s_cbranch_execz .LBB27_726
; %bb.728:                              ;   in Loop: Header=BB27_727 Depth=1
	v_mul_u64_e32 v[18:19], s[14:15], v[18:19]
	s_delay_alu instid0(VALU_DEP_1) | instskip(NEXT) | instid1(VALU_DEP_1)
	v_mov_b32_e32 v14, v18
	v_mul_u64_e32 v[24:25], 5, v[14:15]
	s_delay_alu instid0(VALU_DEP_1) | instskip(NEXT) | instid1(VALU_DEP_1)
	v_mov_b32_e32 v14, v25
	v_mad_nc_u64_u32 v[24:25], v19, 5, v[14:15]
	s_delay_alu instid0(VALU_DEP_1) | instskip(NEXT) | instid1(VALU_DEP_1)
	v_dual_mov_b32 v14, v25 :: v_dual_mov_b32 v25, v15
	v_mad_nc_u64_u32 v[24:25], v18, 2, v[24:25]
	s_delay_alu instid0(VALU_DEP_1) | instskip(NEXT) | instid1(VALU_DEP_1)
	v_dual_mov_b32 v24, v25 :: v_dual_mov_b32 v25, v15
	v_add_nc_u64_e32 v[24:25], v[14:15], v[24:25]
	s_delay_alu instid0(VALU_DEP_1) | instskip(NEXT) | instid1(VALU_DEP_1)
	v_mad_nc_u64_u32 v[24:25], v19, 2, v[24:25]
	v_sub_nc_u64_e32 v[26:27], v[18:19], v[24:25]
	s_delay_alu instid0(VALU_DEP_1) | instskip(NEXT) | instid1(VALU_DEP_1)
	v_lshrrev_b64 v[26:27], 1, v[26:27]
	v_add_nc_u64_e32 v[24:25], v[26:27], v[24:25]
	s_delay_alu instid0(VALU_DEP_1) | instskip(NEXT) | instid1(VALU_DEP_1)
	v_lshrrev_b64 v[24:25], 30, v[24:25]
	v_mul_u64_e32 v[24:25], 0x7fffffff, v[24:25]
	s_delay_alu instid0(VALU_DEP_1)
	v_sub_nc_u64_e32 v[18:19], v[18:19], v[24:25]
	s_branch .LBB27_726
.LBB27_729:
	s_or_b32 exec_lo, exec_lo, s14
	v_add_min_u32_e64 v4, 0x80000001, v26, v26
	s_delay_alu instid0(VALU_DEP_1)
	v_add_min_u32_e64 v23, 0x80000001, v4, v4
.LBB27_730:
	s_or_b32 exec_lo, exec_lo, s13
	v_mov_b32_e32 v4, 0
	s_movk_i32 s5, 0x1388
	s_brev_b32 s4, 12
.LBB27_731:                             ; =>This Inner Loop Header: Depth=1
	v_mul_hi_u32 v22, 0xbc8f1391, v23
	s_delay_alu instid0(VALU_DEP_1) | instskip(NEXT) | instid1(VALU_DEP_1)
	v_dual_add_f32 v31, 1.0, v4 :: v_dual_lshrrev_b32 v22, 15, v22
	v_mul_u32_u24_e32 v24, 0xadc8, v22
	s_delay_alu instid0(VALU_DEP_1) | instskip(SKIP_1) | instid1(VALU_DEP_2)
	v_sub_nc_u32_e32 v23, v23, v24
	v_mul_u32_u24_e32 v22, 0xd47, v22
	v_mul_lo_u32 v23, 0xbc8f, v23
	s_delay_alu instid0(VALU_DEP_2) | instskip(SKIP_1) | instid1(VALU_DEP_3)
	v_xor_b32_e32 v24, 0x7fffffff, v22
	v_sub_nc_u32_e32 v25, 0, v22
	v_cmp_lt_u32_e32 vcc_lo, v23, v22
	s_delay_alu instid0(VALU_DEP_2) | instskip(NEXT) | instid1(VALU_DEP_1)
	v_cndmask_b32_e32 v22, v25, v24, vcc_lo
	v_add_nc_u32_e32 v22, v22, v23
	s_delay_alu instid0(VALU_DEP_1) | instskip(NEXT) | instid1(VALU_DEP_1)
	v_mul_hi_u32 v23, 0xbc8f1391, v22
	v_lshrrev_b32_e32 v23, 15, v23
	s_delay_alu instid0(VALU_DEP_1) | instskip(SKIP_1) | instid1(VALU_DEP_1)
	v_mul_u32_u24_e32 v24, 0xadc8, v23
	v_mul_u32_u24_e32 v23, 0xd47, v23
	v_dual_sub_nc_u32 v24, v22, v24 :: v_dual_sub_nc_u32 v26, 0, v23
	v_xor_b32_e32 v25, 0x7fffffff, v23
	v_add_nc_u32_e32 v22, -1, v22
	s_delay_alu instid0(VALU_DEP_3) | instskip(NEXT) | instid1(VALU_DEP_1)
	v_mul_lo_u32 v24, 0xbc8f, v24
	v_cmp_lt_u32_e32 vcc_lo, v24, v23
	s_delay_alu instid0(VALU_DEP_4) | instskip(NEXT) | instid1(VALU_DEP_1)
	v_cndmask_b32_e32 v23, v26, v25, vcc_lo
	v_add_nc_u32_e32 v23, v23, v24
	s_delay_alu instid0(VALU_DEP_1) | instskip(NEXT) | instid1(VALU_DEP_1)
	v_mul_hi_u32 v24, 0xbc8f1391, v23
	v_lshrrev_b32_e32 v24, 15, v24
	s_delay_alu instid0(VALU_DEP_1) | instskip(SKIP_1) | instid1(VALU_DEP_1)
	v_mul_u32_u24_e32 v25, 0xadc8, v24
	v_mul_u32_u24_e32 v24, 0xd47, v24
	v_dual_sub_nc_u32 v27, 0, v24 :: v_dual_sub_nc_u32 v25, v23, v25
	v_xor_b32_e32 v26, 0x7fffffff, v24
	v_add_nc_u32_e32 v23, -1, v23
	s_delay_alu instid0(VALU_DEP_3) | instskip(NEXT) | instid1(VALU_DEP_1)
	v_mul_lo_u32 v25, 0xbc8f, v25
	v_cmp_lt_u32_e32 vcc_lo, v25, v24
	s_delay_alu instid0(VALU_DEP_4) | instskip(NEXT) | instid1(VALU_DEP_1)
	v_cndmask_b32_e32 v24, v27, v26, vcc_lo
	v_add_nc_u32_e32 v26, v24, v25
	s_delay_alu instid0(VALU_DEP_1) | instskip(NEXT) | instid1(VALU_DEP_1)
	v_mul_hi_u32 v24, 0xbc8f1391, v26
	v_lshrrev_b32_e32 v24, 15, v24
	s_delay_alu instid0(VALU_DEP_1) | instskip(NEXT) | instid1(VALU_DEP_1)
	v_mul_u32_u24_e32 v25, 0xadc8, v24
	v_sub_nc_u32_e32 v25, v26, v25
	s_delay_alu instid0(VALU_DEP_1) | instskip(SKIP_2) | instid1(VALU_DEP_2)
	v_mul_lo_u32 v27, 0xbc8f, v25
	v_mul_u32_u24_e32 v25, 0xd47, v24
	v_cvt_f32_u32_e32 v24, v22
	v_xor_b32_e32 v22, 0x7fffffff, v25
	v_sub_nc_u32_e32 v32, 0, v25
	v_cmp_lt_u32_e32 vcc_lo, v27, v25
	v_cvt_f32_u32_e32 v25, v23
	s_delay_alu instid0(VALU_DEP_3) | instskip(NEXT) | instid1(VALU_DEP_2)
	v_cndmask_b32_e32 v22, v32, v22, vcc_lo
	v_pk_fma_f32 v[24:25], v[24:25], s[4:5], 0 op_sel_hi:[1,0,0]
	s_delay_alu instid0(VALU_DEP_2) | instskip(NEXT) | instid1(VALU_DEP_2)
	v_dual_add_nc_u32 v23, v22, v27 :: v_dual_add_nc_u32 v22, -1, v26
	v_pk_mul_f32 v[24:25], v[24:25], v[24:25]
	s_delay_alu instid0(VALU_DEP_2) | instskip(NEXT) | instid1(VALU_DEP_3)
	v_add_nc_u32_e32 v27, -1, v23
	v_cvt_f32_u32_e32 v26, v22
	s_delay_alu instid0(VALU_DEP_3) | instskip(NEXT) | instid1(VALU_DEP_3)
	v_add_f32_e32 v22, v24, v25
	v_cvt_f32_u32_e32 v27, v27
	s_delay_alu instid0(VALU_DEP_2) | instskip(NEXT) | instid1(VALU_DEP_2)
	v_cmp_gt_f32_e32 vcc_lo, 0xf800000, v22
	v_pk_fma_f32 v[24:25], v[26:27], s[4:5], 0 op_sel_hi:[1,0,0]
	v_mul_f32_e32 v26, 0x4f800000, v22
	s_add_co_i32 s5, s5, -2
	s_delay_alu instid0(SALU_CYCLE_1) | instskip(NEXT) | instid1(VALU_DEP_2)
	s_cmp_lg_u32 s5, 0
	v_pk_mul_f32 v[24:25], v[24:25], v[24:25]
	s_delay_alu instid0(VALU_DEP_1) | instskip(NEXT) | instid1(VALU_DEP_1)
	v_add_f32_e32 v24, v24, v25
	v_cmp_gt_f32_e64 s2, 0xf800000, v24
	v_cndmask_b32_e32 v22, v22, v26, vcc_lo
	v_mul_f32_e32 v26, 0x4f800000, v24
	s_delay_alu instid0(VALU_DEP_1) | instskip(NEXT) | instid1(VALU_DEP_3)
	v_cndmask_b32_e64 v24, v24, v26, s2
	v_sqrt_f32_e32 v25, v22
	s_delay_alu instid0(VALU_DEP_1) | instskip(NEXT) | instid1(TRANS32_DEP_2)
	v_sqrt_f32_e32 v33, v24
	v_dual_add_nc_u32 v27, -1, v25 :: v_dual_add_nc_u32 v26, 1, v25
	s_delay_alu instid0(VALU_DEP_1) | instskip(NEXT) | instid1(VALU_DEP_1)
	v_fma_f32 v32, -v27, v25, v22
	v_cmp_ge_f32_e64 s3, 0, v32
	s_delay_alu instid0(VALU_DEP_1) | instskip(NEXT) | instid1(VALU_DEP_1)
	v_dual_fma_f32 v34, -v26, v25, v22 :: v_dual_cndmask_b32 v25, v25, v27, s3
	v_cmp_lt_f32_e64 s3, 0, v34
	s_delay_alu instid0(TRANS32_DEP_1) | instid1(VALU_DEP_1)
	v_dual_add_nc_u32 v27, -1, v33 :: v_dual_cndmask_b32 v25, v25, v26, s3
	s_delay_alu instid0(VALU_DEP_1) | instskip(NEXT) | instid1(VALU_DEP_1)
	v_dual_add_nc_u32 v26, 1, v33 :: v_dual_fma_f32 v32, -v27, v33, v24
	v_fma_f32 v35, -v26, v33, v24
	s_delay_alu instid0(VALU_DEP_2) | instskip(NEXT) | instid1(VALU_DEP_1)
	v_cmp_ge_f32_e64 s3, 0, v32
	v_cndmask_b32_e64 v27, v33, v27, s3
	s_delay_alu instid0(VALU_DEP_3) | instskip(NEXT) | instid1(VALU_DEP_1)
	v_cmp_lt_f32_e64 s3, 0, v35
	v_cndmask_b32_e64 v26, v27, v26, s3
	v_mul_f32_e32 v34, 0x37800000, v25
	s_delay_alu instid0(VALU_DEP_1) | instskip(SKIP_1) | instid1(VALU_DEP_2)
	v_cndmask_b32_e32 v25, v25, v34, vcc_lo
	v_cmp_class_f32_e64 vcc_lo, v22, 0x260
	v_cndmask_b32_e32 v22, v25, v22, vcc_lo
	v_mul_f32_e32 v25, 0x37800000, v26
	s_delay_alu instid0(VALU_DEP_2) | instskip(NEXT) | instid1(VALU_DEP_2)
	v_cmp_nge_f32_e32 vcc_lo, 1.0, v22
	v_dual_cndmask_b32 v22, v26, v25, s2 :: v_dual_cndmask_b32 v4, v31, v4, vcc_lo
	v_cmp_class_f32_e64 vcc_lo, v24, 0x260
	s_delay_alu instid0(VALU_DEP_2) | instskip(NEXT) | instid1(VALU_DEP_3)
	v_add_f32_e32 v25, 1.0, v4
	v_cndmask_b32_e32 v22, v22, v24, vcc_lo
	s_delay_alu instid0(VALU_DEP_1) | instskip(NEXT) | instid1(VALU_DEP_3)
	v_cmp_nge_f32_e32 vcc_lo, 1.0, v22
	v_cndmask_b32_e32 v4, v25, v4, vcc_lo
	s_cbranch_scc1 .LBB27_731
; %bb.732:
	s_delay_alu instid0(VALU_DEP_1) | instskip(NEXT) | instid1(VALU_DEP_1)
	v_mul_f32_e32 v4, 4.0, v4
	v_div_scale_f32 v22, null, 0x459c4000, 0x459c4000, v4
	s_delay_alu instid0(VALU_DEP_1) | instskip(SKIP_1) | instid1(TRANS32_DEP_1)
	v_rcp_f32_e32 v23, v22
	v_nop
	v_fma_f32 v24, -v22, v23, 1.0
	s_delay_alu instid0(VALU_DEP_1) | instskip(SKIP_1) | instid1(VALU_DEP_1)
	v_fmac_f32_e32 v23, v24, v23
	v_div_scale_f32 v24, vcc_lo, v4, 0x459c4000, v4
	v_mul_f32_e32 v25, v24, v23
	s_delay_alu instid0(VALU_DEP_1) | instskip(NEXT) | instid1(VALU_DEP_1)
	v_fma_f32 v26, -v22, v25, v24
	v_fmac_f32_e32 v25, v26, v23
	s_delay_alu instid0(VALU_DEP_1) | instskip(NEXT) | instid1(VALU_DEP_1)
	v_fma_f32 v22, -v22, v25, v24
	v_div_fmas_f32 v22, v22, v23, v25
	s_delay_alu instid0(VALU_DEP_1)
	v_div_fixup_f32 v4, v22, 0x459c4000, v4
.LBB27_733:
	s_or_b32 exec_lo, exec_lo, s12
	v_add_nc_u32_e32 v22, 0x300, v50
	s_delay_alu instid0(VALU_DEP_1)
	v_cmp_lt_u32_e64 s2, v22, v29
	s_and_saveexec_b32 s14, s2
	s_cbranch_execz .LBB27_772
; %bb.734:
	v_dual_add_nc_u32 v5, v30, v22 :: v_dual_mov_b32 v23, 1
	s_mov_b32 s5, 0
	s_mov_b32 s3, exec_lo
	s_delay_alu instid0(VALU_DEP_1) | instskip(NEXT) | instid1(VALU_DEP_1)
	v_mul_lo_u32 v22, 0x1388, v5
	v_cmpx_ne_u32_e32 0, v22
	s_cbranch_execz .LBB27_769
; %bb.735:
	v_mov_b32_e32 v23, 0
	v_mov_b64_e32 v[26:27], 1
	s_mov_b64 s[12:13], 0xbc8f
	s_mov_b64 s[6:7], 0xfffffffd
	;; [unrolled: 1-line block ×3, first 2 shown]
	v_mov_b64_e32 v[24:25], v[22:23]
	s_mov_b64 s[10:11], 0x80000001
	s_mov_b32 s15, 0
	s_branch .LBB27_737
.LBB27_736:                             ;   in Loop: Header=BB27_737 Depth=1
	s_or_b32 exec_lo, exec_lo, s4
	s_mul_u64 s[12:13], s[12:13], s[12:13]
	s_mov_b32 s17, s5
	s_and_b64 s[20:21], s[12:13], s[6:7]
	s_mov_b32 s4, s13
	s_mul_u64 s[22:23], s[20:21], 3
	s_mul_u64 s[24:25], s[4:5], 3
	s_mov_b32 s16, s23
	s_mul_u64 s[20:21], s[20:21], s[10:11]
	s_add_nc_u64 s[16:17], s[24:25], s[16:17]
	v_lshrrev_b64 v[32:33], 1, v[24:25]
	s_and_b64 s[24:25], s[16:17], s[8:9]
	s_mov_b32 s23, s5
	s_add_nc_u64 s[20:21], s[20:21], s[24:25]
	s_mov_b32 s27, s5
	s_mov_b32 s22, s17
	;; [unrolled: 1-line block ×3, first 2 shown]
	s_mul_u64 s[20:21], s[4:5], s[10:11]
	s_add_nc_u64 s[16:17], s[22:23], s[26:27]
	v_cmp_gt_u64_e32 vcc_lo, 2, v[24:25]
	s_add_nc_u64 s[16:17], s[20:21], s[16:17]
	v_mov_b64_e32 v[24:25], v[32:33]
	s_lshr_b64 s[16:17], s[16:17], 30
	s_delay_alu instid0(SALU_CYCLE_1)
	s_mul_u64 s[16:17], s[16:17], 0x7fffffff
	s_or_b32 s15, vcc_lo, s15
	s_sub_nc_u64 s[12:13], s[12:13], s[16:17]
	s_and_not1_b32 exec_lo, exec_lo, s15
	s_cbranch_execz .LBB27_768
.LBB27_737:                             ; =>This Inner Loop Header: Depth=1
	s_delay_alu instid0(VALU_DEP_1) | instskip(SKIP_1) | instid1(VALU_DEP_1)
	v_and_b32_e32 v5, 1, v24
	s_mov_b32 s4, exec_lo
	v_cmpx_eq_u32_e32 1, v5
	s_cbranch_execz .LBB27_736
; %bb.738:                              ;   in Loop: Header=BB27_737 Depth=1
	v_mul_u64_e32 v[26:27], s[12:13], v[26:27]
	s_delay_alu instid0(VALU_DEP_1) | instskip(NEXT) | instid1(VALU_DEP_1)
	v_mov_b32_e32 v22, v26
	v_mul_u64_e32 v[32:33], 5, v[22:23]
	s_delay_alu instid0(VALU_DEP_1) | instskip(NEXT) | instid1(VALU_DEP_1)
	v_mov_b32_e32 v22, v33
	v_mad_nc_u64_u32 v[32:33], v27, 5, v[22:23]
	s_delay_alu instid0(VALU_DEP_1) | instskip(NEXT) | instid1(VALU_DEP_1)
	v_dual_mov_b32 v22, v33 :: v_dual_mov_b32 v33, v23
	v_mad_nc_u64_u32 v[32:33], v26, 2, v[32:33]
	s_delay_alu instid0(VALU_DEP_1) | instskip(NEXT) | instid1(VALU_DEP_1)
	v_dual_mov_b32 v32, v33 :: v_dual_mov_b32 v33, v23
	v_add_nc_u64_e32 v[32:33], v[22:23], v[32:33]
	s_delay_alu instid0(VALU_DEP_1) | instskip(NEXT) | instid1(VALU_DEP_1)
	v_mad_nc_u64_u32 v[32:33], v27, 2, v[32:33]
	v_sub_nc_u64_e32 v[34:35], v[26:27], v[32:33]
	s_delay_alu instid0(VALU_DEP_1) | instskip(NEXT) | instid1(VALU_DEP_1)
	v_lshrrev_b64 v[34:35], 1, v[34:35]
	v_add_nc_u64_e32 v[32:33], v[34:35], v[32:33]
	s_delay_alu instid0(VALU_DEP_1) | instskip(NEXT) | instid1(VALU_DEP_1)
	v_lshrrev_b64 v[32:33], 30, v[32:33]
	v_mul_u64_e32 v[32:33], 0x7fffffff, v[32:33]
	s_delay_alu instid0(VALU_DEP_1)
	v_sub_nc_u64_e32 v[26:27], v[26:27], v[32:33]
	s_branch .LBB27_736
.LBB27_739:
	s_or_b32 exec_lo, exec_lo, s14
	v_add_min_u32_e64 v2, 0x80000001, v48, v48
	s_delay_alu instid0(VALU_DEP_1)
	v_add_min_u32_e64 v37, 0x80000001, v2, v2
.LBB27_740:
	s_or_b32 exec_lo, exec_lo, s13
	v_mov_b32_e32 v2, 0
	s_movk_i32 s5, 0x1388
	s_brev_b32 s4, 12
.LBB27_741:                             ; =>This Inner Loop Header: Depth=1
	v_mul_hi_u32 v36, 0xbc8f1391, v37
	s_delay_alu instid0(VALU_DEP_1) | instskip(NEXT) | instid1(VALU_DEP_1)
	v_dual_add_f32 v54, 1.0, v2 :: v_dual_lshrrev_b32 v36, 15, v36
	v_mul_u32_u24_e32 v38, 0xadc8, v36
	s_delay_alu instid0(VALU_DEP_1) | instskip(SKIP_1) | instid1(VALU_DEP_2)
	v_sub_nc_u32_e32 v37, v37, v38
	v_mul_u32_u24_e32 v36, 0xd47, v36
	v_mul_lo_u32 v37, 0xbc8f, v37
	s_delay_alu instid0(VALU_DEP_2) | instskip(SKIP_1) | instid1(VALU_DEP_3)
	v_xor_b32_e32 v38, 0x7fffffff, v36
	v_sub_nc_u32_e32 v39, 0, v36
	v_cmp_lt_u32_e32 vcc_lo, v37, v36
	s_delay_alu instid0(VALU_DEP_2) | instskip(NEXT) | instid1(VALU_DEP_1)
	v_cndmask_b32_e32 v36, v39, v38, vcc_lo
	v_add_nc_u32_e32 v36, v36, v37
	s_delay_alu instid0(VALU_DEP_1) | instskip(NEXT) | instid1(VALU_DEP_1)
	v_mul_hi_u32 v37, 0xbc8f1391, v36
	v_lshrrev_b32_e32 v37, 15, v37
	s_delay_alu instid0(VALU_DEP_1) | instskip(SKIP_1) | instid1(VALU_DEP_1)
	v_mul_u32_u24_e32 v38, 0xadc8, v37
	v_mul_u32_u24_e32 v37, 0xd47, v37
	v_dual_sub_nc_u32 v38, v36, v38 :: v_dual_sub_nc_u32 v48, 0, v37
	v_xor_b32_e32 v39, 0x7fffffff, v37
	v_add_nc_u32_e32 v36, -1, v36
	s_delay_alu instid0(VALU_DEP_3) | instskip(NEXT) | instid1(VALU_DEP_1)
	v_mul_lo_u32 v38, 0xbc8f, v38
	v_cmp_lt_u32_e32 vcc_lo, v38, v37
	s_delay_alu instid0(VALU_DEP_4) | instskip(NEXT) | instid1(VALU_DEP_1)
	v_cndmask_b32_e32 v37, v48, v39, vcc_lo
	v_add_nc_u32_e32 v37, v37, v38
	s_delay_alu instid0(VALU_DEP_1) | instskip(NEXT) | instid1(VALU_DEP_1)
	v_mul_hi_u32 v38, 0xbc8f1391, v37
	v_lshrrev_b32_e32 v38, 15, v38
	s_delay_alu instid0(VALU_DEP_1) | instskip(SKIP_1) | instid1(VALU_DEP_1)
	v_mul_u32_u24_e32 v39, 0xadc8, v38
	v_mul_u32_u24_e32 v38, 0xd47, v38
	v_dual_sub_nc_u32 v49, 0, v38 :: v_dual_sub_nc_u32 v39, v37, v39
	v_xor_b32_e32 v48, 0x7fffffff, v38
	v_add_nc_u32_e32 v37, -1, v37
	s_delay_alu instid0(VALU_DEP_3) | instskip(NEXT) | instid1(VALU_DEP_1)
	v_mul_lo_u32 v39, 0xbc8f, v39
	v_cmp_lt_u32_e32 vcc_lo, v39, v38
	s_delay_alu instid0(VALU_DEP_4) | instskip(NEXT) | instid1(VALU_DEP_1)
	v_cndmask_b32_e32 v38, v49, v48, vcc_lo
	v_add_nc_u32_e32 v48, v38, v39
	s_delay_alu instid0(VALU_DEP_1) | instskip(NEXT) | instid1(VALU_DEP_1)
	v_mul_hi_u32 v38, 0xbc8f1391, v48
	v_lshrrev_b32_e32 v38, 15, v38
	s_delay_alu instid0(VALU_DEP_1) | instskip(NEXT) | instid1(VALU_DEP_1)
	v_mul_u32_u24_e32 v39, 0xadc8, v38
	v_sub_nc_u32_e32 v39, v48, v39
	s_delay_alu instid0(VALU_DEP_1) | instskip(SKIP_2) | instid1(VALU_DEP_2)
	v_mul_lo_u32 v49, 0xbc8f, v39
	v_mul_u32_u24_e32 v39, 0xd47, v38
	v_cvt_f32_u32_e32 v38, v36
	v_xor_b32_e32 v36, 0x7fffffff, v39
	v_sub_nc_u32_e32 v55, 0, v39
	v_cmp_lt_u32_e32 vcc_lo, v49, v39
	v_cvt_f32_u32_e32 v39, v37
	s_delay_alu instid0(VALU_DEP_3) | instskip(NEXT) | instid1(VALU_DEP_2)
	v_cndmask_b32_e32 v36, v55, v36, vcc_lo
	v_pk_fma_f32 v[38:39], v[38:39], s[4:5], 0 op_sel_hi:[1,0,0]
	s_delay_alu instid0(VALU_DEP_2) | instskip(NEXT) | instid1(VALU_DEP_2)
	v_dual_add_nc_u32 v37, v36, v49 :: v_dual_add_nc_u32 v36, -1, v48
	v_pk_mul_f32 v[38:39], v[38:39], v[38:39]
	s_delay_alu instid0(VALU_DEP_2) | instskip(NEXT) | instid1(VALU_DEP_3)
	v_add_nc_u32_e32 v49, -1, v37
	v_cvt_f32_u32_e32 v48, v36
	s_delay_alu instid0(VALU_DEP_3) | instskip(NEXT) | instid1(VALU_DEP_3)
	v_add_f32_e32 v36, v38, v39
	v_cvt_f32_u32_e32 v49, v49
	s_delay_alu instid0(VALU_DEP_2) | instskip(NEXT) | instid1(VALU_DEP_2)
	v_cmp_gt_f32_e32 vcc_lo, 0xf800000, v36
	v_pk_fma_f32 v[38:39], v[48:49], s[4:5], 0 op_sel_hi:[1,0,0]
	v_mul_f32_e32 v48, 0x4f800000, v36
	s_add_co_i32 s5, s5, -2
	s_delay_alu instid0(SALU_CYCLE_1) | instskip(NEXT) | instid1(VALU_DEP_2)
	s_cmp_lg_u32 s5, 0
	v_pk_mul_f32 v[38:39], v[38:39], v[38:39]
	s_delay_alu instid0(VALU_DEP_1) | instskip(NEXT) | instid1(VALU_DEP_1)
	v_add_f32_e32 v38, v38, v39
	v_cmp_gt_f32_e64 s2, 0xf800000, v38
	v_cndmask_b32_e32 v36, v36, v48, vcc_lo
	v_mul_f32_e32 v48, 0x4f800000, v38
	s_delay_alu instid0(VALU_DEP_1) | instskip(NEXT) | instid1(VALU_DEP_3)
	v_cndmask_b32_e64 v38, v38, v48, s2
	v_sqrt_f32_e32 v39, v36
	s_delay_alu instid0(VALU_DEP_1) | instskip(NEXT) | instid1(TRANS32_DEP_2)
	v_sqrt_f32_e32 v64, v38
	v_dual_add_nc_u32 v49, -1, v39 :: v_dual_add_nc_u32 v48, 1, v39
	s_delay_alu instid0(VALU_DEP_1) | instskip(NEXT) | instid1(VALU_DEP_1)
	v_fma_f32 v55, -v49, v39, v36
	v_cmp_ge_f32_e64 s3, 0, v55
	s_delay_alu instid0(VALU_DEP_1) | instskip(NEXT) | instid1(VALU_DEP_1)
	v_dual_fma_f32 v65, -v48, v39, v36 :: v_dual_cndmask_b32 v39, v39, v49, s3
	v_cmp_lt_f32_e64 s3, 0, v65
	s_delay_alu instid0(TRANS32_DEP_1) | instskip(NEXT) | instid1(VALU_DEP_2)
	v_add_nc_u32_e32 v49, -1, v64
	v_cndmask_b32_e64 v39, v39, v48, s3
	s_delay_alu instid0(VALU_DEP_2) | instskip(NEXT) | instid1(VALU_DEP_1)
	v_dual_add_nc_u32 v48, 1, v64 :: v_dual_fma_f32 v55, -v49, v64, v38
	v_cmp_ge_f32_e64 s3, 0, v55
	s_delay_alu instid0(VALU_DEP_1) | instskip(NEXT) | instid1(VALU_DEP_4)
	v_cndmask_b32_e64 v49, v64, v49, s3
	v_mul_f32_e32 v65, 0x37800000, v39
	s_delay_alu instid0(VALU_DEP_1) | instskip(SKIP_1) | instid1(VALU_DEP_2)
	v_cndmask_b32_e32 v39, v39, v65, vcc_lo
	v_cmp_class_f32_e64 vcc_lo, v36, 0x260
	v_cndmask_b32_e32 v36, v39, v36, vcc_lo
	s_delay_alu instid0(VALU_DEP_1) | instskip(NEXT) | instid1(VALU_DEP_3)
	v_cmp_nge_f32_e32 vcc_lo, 1.0, v36
	v_dual_fma_f32 v66, -v48, v64, v38 :: v_dual_cndmask_b32 v2, v54, v2, vcc_lo
	s_delay_alu instid0(VALU_DEP_1) | instskip(SKIP_1) | instid1(VALU_DEP_2)
	v_cmp_lt_f32_e64 s3, 0, v66
	v_cmp_class_f32_e64 vcc_lo, v38, 0x260
	v_cndmask_b32_e64 v48, v49, v48, s3
	s_delay_alu instid0(VALU_DEP_1) | instskip(NEXT) | instid1(VALU_DEP_1)
	v_mul_f32_e32 v39, 0x37800000, v48
	v_dual_cndmask_b32 v36, v48, v39, s2 :: v_dual_add_f32 v39, 1.0, v2
	s_delay_alu instid0(VALU_DEP_1) | instskip(NEXT) | instid1(VALU_DEP_1)
	v_cndmask_b32_e32 v36, v36, v38, vcc_lo
	v_cmp_nge_f32_e32 vcc_lo, 1.0, v36
	s_delay_alu instid0(VALU_DEP_3)
	v_cndmask_b32_e32 v2, v39, v2, vcc_lo
	s_cbranch_scc1 .LBB27_741
; %bb.742:
	s_delay_alu instid0(VALU_DEP_1) | instskip(NEXT) | instid1(VALU_DEP_1)
	v_mul_f32_e32 v2, 4.0, v2
	v_div_scale_f32 v36, null, 0x459c4000, 0x459c4000, v2
	s_delay_alu instid0(VALU_DEP_1) | instskip(SKIP_1) | instid1(TRANS32_DEP_1)
	v_rcp_f32_e32 v37, v36
	v_nop
	v_fma_f32 v38, -v36, v37, 1.0
	s_delay_alu instid0(VALU_DEP_1) | instskip(SKIP_1) | instid1(VALU_DEP_1)
	v_fmac_f32_e32 v37, v38, v37
	v_div_scale_f32 v38, vcc_lo, v2, 0x459c4000, v2
	v_mul_f32_e32 v39, v38, v37
	s_delay_alu instid0(VALU_DEP_1) | instskip(NEXT) | instid1(VALU_DEP_1)
	v_fma_f32 v48, -v36, v39, v38
	v_fmac_f32_e32 v39, v48, v37
	s_delay_alu instid0(VALU_DEP_1) | instskip(NEXT) | instid1(VALU_DEP_1)
	v_fma_f32 v36, -v36, v39, v38
	v_div_fmas_f32 v36, v36, v37, v39
	s_delay_alu instid0(VALU_DEP_1)
	v_div_fixup_f32 v2, v36, 0x459c4000, v2
.LBB27_743:
	s_or_b32 exec_lo, exec_lo, s12
	v_add_nc_u32_e32 v36, 0x300, v50
	s_delay_alu instid0(VALU_DEP_1)
	v_cmp_lt_u32_e64 s2, v36, v52
	s_and_saveexec_b32 s14, s2
	s_cbranch_execz .LBB27_782
; %bb.744:
	v_dual_add_nc_u32 v3, v53, v36 :: v_dual_mov_b32 v37, 1
	s_mov_b32 s5, 0
	s_mov_b32 s3, exec_lo
	s_delay_alu instid0(VALU_DEP_1) | instskip(NEXT) | instid1(VALU_DEP_1)
	v_mul_lo_u32 v36, 0x1388, v3
	v_cmpx_ne_u32_e32 0, v36
	s_cbranch_execz .LBB27_779
; %bb.745:
	v_mov_b32_e32 v37, 0
	v_mov_b64_e32 v[48:49], 1
	s_mov_b64 s[12:13], 0xbc8f
	s_mov_b64 s[6:7], 0xfffffffd
	;; [unrolled: 1-line block ×3, first 2 shown]
	v_mov_b64_e32 v[38:39], v[36:37]
	s_mov_b64 s[10:11], 0x80000001
	s_mov_b32 s15, 0
	s_branch .LBB27_747
.LBB27_746:                             ;   in Loop: Header=BB27_747 Depth=1
	s_or_b32 exec_lo, exec_lo, s4
	s_mul_u64 s[12:13], s[12:13], s[12:13]
	s_mov_b32 s17, s5
	s_and_b64 s[18:19], s[12:13], s[6:7]
	s_mov_b32 s4, s13
	s_mul_u64 s[20:21], s[18:19], 3
	s_mul_u64 s[22:23], s[4:5], 3
	s_mov_b32 s16, s21
	s_mul_u64 s[18:19], s[18:19], s[10:11]
	s_add_nc_u64 s[16:17], s[22:23], s[16:17]
	v_lshrrev_b64 v[54:55], 1, v[38:39]
	s_and_b64 s[22:23], s[16:17], s[8:9]
	s_mov_b32 s21, s5
	s_add_nc_u64 s[18:19], s[18:19], s[22:23]
	s_mov_b32 s25, s5
	s_mov_b32 s20, s17
	;; [unrolled: 1-line block ×3, first 2 shown]
	s_mul_u64 s[18:19], s[4:5], s[10:11]
	s_add_nc_u64 s[16:17], s[20:21], s[24:25]
	v_cmp_gt_u64_e32 vcc_lo, 2, v[38:39]
	s_add_nc_u64 s[16:17], s[18:19], s[16:17]
	v_mov_b64_e32 v[38:39], v[54:55]
	s_lshr_b64 s[16:17], s[16:17], 30
	s_delay_alu instid0(SALU_CYCLE_1)
	s_mul_u64 s[16:17], s[16:17], 0x7fffffff
	s_or_b32 s15, vcc_lo, s15
	s_sub_nc_u64 s[12:13], s[12:13], s[16:17]
	s_and_not1_b32 exec_lo, exec_lo, s15
	s_cbranch_execz .LBB27_778
.LBB27_747:                             ; =>This Inner Loop Header: Depth=1
	s_delay_alu instid0(VALU_DEP_1) | instskip(SKIP_1) | instid1(VALU_DEP_1)
	v_and_b32_e32 v3, 1, v38
	s_mov_b32 s4, exec_lo
	v_cmpx_eq_u32_e32 1, v3
	s_cbranch_execz .LBB27_746
; %bb.748:                              ;   in Loop: Header=BB27_747 Depth=1
	v_mul_u64_e32 v[48:49], s[12:13], v[48:49]
	s_delay_alu instid0(VALU_DEP_1) | instskip(NEXT) | instid1(VALU_DEP_1)
	v_mov_b32_e32 v36, v48
	v_mul_u64_e32 v[54:55], 5, v[36:37]
	s_delay_alu instid0(VALU_DEP_1) | instskip(NEXT) | instid1(VALU_DEP_1)
	v_mov_b32_e32 v36, v55
	v_mad_nc_u64_u32 v[54:55], v49, 5, v[36:37]
	s_delay_alu instid0(VALU_DEP_1) | instskip(NEXT) | instid1(VALU_DEP_1)
	v_dual_mov_b32 v36, v55 :: v_dual_mov_b32 v55, v37
	v_mad_nc_u64_u32 v[54:55], v48, 2, v[54:55]
	s_delay_alu instid0(VALU_DEP_1) | instskip(NEXT) | instid1(VALU_DEP_1)
	v_dual_mov_b32 v54, v55 :: v_dual_mov_b32 v55, v37
	v_add_nc_u64_e32 v[54:55], v[36:37], v[54:55]
	s_delay_alu instid0(VALU_DEP_1) | instskip(NEXT) | instid1(VALU_DEP_1)
	v_mad_nc_u64_u32 v[54:55], v49, 2, v[54:55]
	v_sub_nc_u64_e32 v[64:65], v[48:49], v[54:55]
	s_delay_alu instid0(VALU_DEP_1) | instskip(NEXT) | instid1(VALU_DEP_1)
	v_lshrrev_b64 v[64:65], 1, v[64:65]
	v_add_nc_u64_e32 v[54:55], v[64:65], v[54:55]
	s_delay_alu instid0(VALU_DEP_1) | instskip(NEXT) | instid1(VALU_DEP_1)
	v_lshrrev_b64 v[54:55], 30, v[54:55]
	v_mul_u64_e32 v[54:55], 0x7fffffff, v[54:55]
	s_delay_alu instid0(VALU_DEP_1)
	v_sub_nc_u64_e32 v[48:49], v[48:49], v[54:55]
	s_branch .LBB27_746
.LBB27_749:
	s_or_b32 exec_lo, exec_lo, s19
	v_add_min_u32_e64 v3, 0x80000001, v14, v14
	s_delay_alu instid0(VALU_DEP_1)
	v_add_min_u32_e64 v11, 0x80000001, v3, v3
.LBB27_750:
	s_or_b32 exec_lo, exec_lo, s3
	v_mov_b32_e32 v3, 0
	s_movk_i32 s5, 0x1388
	s_brev_b32 s8, 12
.LBB27_751:                             ; =>This Inner Loop Header: Depth=1
	v_mul_hi_u32 v10, 0xbc8f1391, v11
	s_add_co_i32 s5, s5, -2
	s_delay_alu instid0(VALU_DEP_2) | instskip(SKIP_1) | instid1(VALU_DEP_2)
	v_add_f32_e32 v18, 1.0, v3
	s_cmp_lg_u32 s5, 0
	v_lshrrev_b32_e32 v10, 15, v10
	s_delay_alu instid0(VALU_DEP_1) | instskip(NEXT) | instid1(VALU_DEP_1)
	v_mul_u32_u24_e32 v12, 0xadc8, v10
	v_sub_nc_u32_e32 v11, v11, v12
	v_mul_u32_u24_e32 v10, 0xd47, v10
	s_delay_alu instid0(VALU_DEP_2) | instskip(NEXT) | instid1(VALU_DEP_2)
	v_mul_lo_u32 v11, 0xbc8f, v11
	v_xor_b32_e32 v12, 0x7fffffff, v10
	v_sub_nc_u32_e32 v13, 0, v10
	s_delay_alu instid0(VALU_DEP_3) | instskip(NEXT) | instid1(VALU_DEP_2)
	v_cmp_lt_u32_e32 vcc_lo, v11, v10
	v_cndmask_b32_e32 v10, v13, v12, vcc_lo
	s_delay_alu instid0(VALU_DEP_1) | instskip(NEXT) | instid1(VALU_DEP_1)
	v_add_nc_u32_e32 v10, v10, v11
	v_mul_hi_u32 v11, 0xbc8f1391, v10
	s_delay_alu instid0(VALU_DEP_1) | instskip(NEXT) | instid1(VALU_DEP_1)
	v_lshrrev_b32_e32 v11, 15, v11
	v_mul_u32_u24_e32 v12, 0xadc8, v11
	v_mul_u32_u24_e32 v11, 0xd47, v11
	s_delay_alu instid0(VALU_DEP_1) | instskip(SKIP_2) | instid1(VALU_DEP_3)
	v_dual_sub_nc_u32 v12, v10, v12 :: v_dual_sub_nc_u32 v14, 0, v11
	v_xor_b32_e32 v13, 0x7fffffff, v11
	v_add_nc_u32_e32 v10, -1, v10
	v_mul_lo_u32 v12, 0xbc8f, v12
	s_delay_alu instid0(VALU_DEP_1) | instskip(NEXT) | instid1(VALU_DEP_4)
	v_cmp_lt_u32_e32 vcc_lo, v12, v11
	v_cndmask_b32_e32 v11, v14, v13, vcc_lo
	s_delay_alu instid0(VALU_DEP_1) | instskip(NEXT) | instid1(VALU_DEP_1)
	v_add_nc_u32_e32 v11, v11, v12
	v_mul_hi_u32 v12, 0xbc8f1391, v11
	s_delay_alu instid0(VALU_DEP_1) | instskip(NEXT) | instid1(VALU_DEP_1)
	v_lshrrev_b32_e32 v12, 15, v12
	v_mul_u32_u24_e32 v13, 0xadc8, v12
	v_mul_u32_u24_e32 v12, 0xd47, v12
	s_delay_alu instid0(VALU_DEP_1) | instskip(SKIP_2) | instid1(VALU_DEP_3)
	v_dual_sub_nc_u32 v15, 0, v12 :: v_dual_sub_nc_u32 v13, v11, v13
	v_xor_b32_e32 v14, 0x7fffffff, v12
	v_add_nc_u32_e32 v11, -1, v11
	v_mul_lo_u32 v13, 0xbc8f, v13
	s_delay_alu instid0(VALU_DEP_1) | instskip(NEXT) | instid1(VALU_DEP_4)
	v_cmp_lt_u32_e32 vcc_lo, v13, v12
	v_cndmask_b32_e32 v12, v15, v14, vcc_lo
	s_delay_alu instid0(VALU_DEP_1) | instskip(NEXT) | instid1(VALU_DEP_1)
	v_add_nc_u32_e32 v14, v12, v13
	v_mul_hi_u32 v12, 0xbc8f1391, v14
	s_delay_alu instid0(VALU_DEP_1) | instskip(NEXT) | instid1(VALU_DEP_1)
	v_lshrrev_b32_e32 v12, 15, v12
	v_mul_u32_u24_e32 v13, 0xadc8, v12
	s_delay_alu instid0(VALU_DEP_1) | instskip(NEXT) | instid1(VALU_DEP_1)
	v_sub_nc_u32_e32 v13, v14, v13
	v_mul_lo_u32 v15, 0xbc8f, v13
	v_mul_u32_u24_e32 v13, 0xd47, v12
	v_cvt_f32_u32_e32 v12, v10
	s_delay_alu instid0(VALU_DEP_2) | instskip(SKIP_3) | instid1(VALU_DEP_3)
	v_xor_b32_e32 v10, 0x7fffffff, v13
	v_sub_nc_u32_e32 v19, 0, v13
	v_cmp_lt_u32_e32 vcc_lo, v15, v13
	v_cvt_f32_u32_e32 v13, v11
	v_cndmask_b32_e32 v10, v19, v10, vcc_lo
	s_delay_alu instid0(VALU_DEP_2) | instskip(NEXT) | instid1(VALU_DEP_2)
	v_pk_fma_f32 v[12:13], v[12:13], s[8:9], 0 op_sel_hi:[1,0,0]
	v_dual_add_nc_u32 v11, v10, v15 :: v_dual_add_nc_u32 v10, -1, v14
	s_delay_alu instid0(VALU_DEP_2) | instskip(NEXT) | instid1(VALU_DEP_2)
	v_pk_mul_f32 v[12:13], v[12:13], v[12:13]
	v_add_nc_u32_e32 v15, -1, v11
	s_delay_alu instid0(VALU_DEP_3) | instskip(NEXT) | instid1(VALU_DEP_3)
	v_cvt_f32_u32_e32 v14, v10
	v_add_f32_e32 v10, v12, v13
	s_delay_alu instid0(VALU_DEP_3) | instskip(NEXT) | instid1(VALU_DEP_2)
	v_cvt_f32_u32_e32 v15, v15
	v_cmp_gt_f32_e32 vcc_lo, 0xf800000, v10
	s_delay_alu instid0(VALU_DEP_2) | instskip(SKIP_1) | instid1(VALU_DEP_2)
	v_pk_fma_f32 v[12:13], v[14:15], s[8:9], 0 op_sel_hi:[1,0,0]
	v_mul_f32_e32 v14, 0x4f800000, v10
	v_pk_mul_f32 v[12:13], v[12:13], v[12:13]
	s_delay_alu instid0(VALU_DEP_1) | instskip(NEXT) | instid1(VALU_DEP_1)
	v_add_f32_e32 v12, v12, v13
	v_cmp_gt_f32_e64 s3, 0xf800000, v12
	s_delay_alu instid0(VALU_DEP_4) | instskip(SKIP_1) | instid1(VALU_DEP_1)
	v_cndmask_b32_e32 v10, v10, v14, vcc_lo
	v_mul_f32_e32 v14, 0x4f800000, v12
	v_cndmask_b32_e64 v12, v12, v14, s3
	s_delay_alu instid0(VALU_DEP_3) | instskip(NEXT) | instid1(VALU_DEP_1)
	v_sqrt_f32_e32 v13, v10
	v_sqrt_f32_e32 v20, v12
	s_delay_alu instid0(TRANS32_DEP_2) | instskip(NEXT) | instid1(VALU_DEP_1)
	v_dual_add_nc_u32 v15, -1, v13 :: v_dual_add_nc_u32 v14, 1, v13
	v_fma_f32 v19, -v15, v13, v10
	s_delay_alu instid0(VALU_DEP_1) | instskip(NEXT) | instid1(VALU_DEP_1)
	v_cmp_ge_f32_e64 s4, 0, v19
	v_dual_fma_f32 v21, -v14, v13, v10 :: v_dual_cndmask_b32 v13, v13, v15, s4
	s_delay_alu instid0(VALU_DEP_1)
	v_cmp_lt_f32_e64 s4, 0, v21
	s_delay_alu instid0(TRANS32_DEP_1) | instid1(VALU_DEP_1)
	v_dual_add_nc_u32 v15, -1, v20 :: v_dual_cndmask_b32 v13, v13, v14, s4
	s_delay_alu instid0(VALU_DEP_1) | instskip(NEXT) | instid1(VALU_DEP_2)
	v_dual_add_nc_u32 v14, 1, v20 :: v_dual_fma_f32 v19, -v15, v20, v12
	v_mul_f32_e32 v21, 0x37800000, v13
	s_delay_alu instid0(VALU_DEP_2) | instskip(NEXT) | instid1(VALU_DEP_3)
	v_fma_f32 v22, -v14, v20, v12
	v_cmp_ge_f32_e64 s4, 0, v19
	s_delay_alu instid0(VALU_DEP_3) | instskip(SKIP_1) | instid1(VALU_DEP_3)
	v_cndmask_b32_e32 v13, v13, v21, vcc_lo
	v_cmp_class_f32_e64 vcc_lo, v10, 0x260
	v_cndmask_b32_e64 v15, v20, v15, s4
	v_cmp_lt_f32_e64 s4, 0, v22
	s_delay_alu instid0(VALU_DEP_4) | instskip(NEXT) | instid1(VALU_DEP_1)
	v_cndmask_b32_e32 v10, v13, v10, vcc_lo
	v_cmp_nge_f32_e32 vcc_lo, 1.0, v10
	s_delay_alu instid0(VALU_DEP_3) | instskip(SKIP_1) | instid1(VALU_DEP_2)
	v_dual_cndmask_b32 v14, v15, v14, s4 :: v_dual_cndmask_b32 v3, v18, v3, vcc_lo
	v_cmp_class_f32_e64 vcc_lo, v12, 0x260
	v_mul_f32_e32 v13, 0x37800000, v14
	s_delay_alu instid0(VALU_DEP_1) | instskip(NEXT) | instid1(VALU_DEP_1)
	v_dual_cndmask_b32 v10, v14, v13, s3 :: v_dual_add_f32 v13, 1.0, v3
	v_cndmask_b32_e32 v10, v10, v12, vcc_lo
	s_delay_alu instid0(VALU_DEP_1) | instskip(NEXT) | instid1(VALU_DEP_3)
	v_cmp_nge_f32_e32 vcc_lo, 1.0, v10
	v_cndmask_b32_e32 v3, v13, v3, vcc_lo
	s_cbranch_scc1 .LBB27_751
; %bb.752:
	s_delay_alu instid0(VALU_DEP_1) | instskip(NEXT) | instid1(VALU_DEP_1)
	v_mul_f32_e32 v3, 4.0, v3
	v_div_scale_f32 v10, null, 0x459c4000, 0x459c4000, v3
	s_delay_alu instid0(VALU_DEP_1) | instskip(SKIP_1) | instid1(TRANS32_DEP_1)
	v_rcp_f32_e32 v11, v10
	v_nop
	v_fma_f32 v12, -v10, v11, 1.0
	s_delay_alu instid0(VALU_DEP_1) | instskip(SKIP_1) | instid1(VALU_DEP_1)
	v_fmac_f32_e32 v11, v12, v11
	v_div_scale_f32 v12, vcc_lo, v3, 0x459c4000, v3
	v_mul_f32_e32 v13, v12, v11
	s_delay_alu instid0(VALU_DEP_1) | instskip(NEXT) | instid1(VALU_DEP_1)
	v_fma_f32 v14, -v10, v13, v12
	v_fmac_f32_e32 v13, v14, v11
	s_delay_alu instid0(VALU_DEP_1) | instskip(NEXT) | instid1(VALU_DEP_1)
	v_fma_f32 v10, -v10, v13, v12
	v_div_fmas_f32 v10, v10, v11, v13
	s_delay_alu instid0(VALU_DEP_1)
	v_div_fixup_f32 v3, v10, 0x459c4000, v3
.LBB27_753:
	s_or_b32 exec_lo, exec_lo, s18
	v_add_f32_e32 v5, v2, v5
	v_and_b32_e32 v10, 0x3e0, v50
	s_delay_alu instid0(VALU_DEP_2) | instskip(SKIP_1) | instid1(VALU_DEP_2)
	v_cndmask_b32_e64 v5, v2, v5, s0
	v_mbcnt_lo_u32_b32 v2, -1, 0
	v_add_f32_e32 v4, v4, v5
	s_delay_alu instid0(VALU_DEP_2) | instskip(SKIP_2) | instid1(VALU_DEP_4)
	v_cmp_ne_u32_e32 vcc_lo, 31, v2
	v_cmp_gt_u32_e64 s0, 28, v2
	v_dual_add_nc_u32 v12, 1, v2 :: v_dual_add_nc_u32 v13, 2, v2
	v_cndmask_b32_e64 v4, v5, v4, s1
	v_add_co_ci_u32_e64 v5, null, 0, v2, vcc_lo
	v_cmp_gt_u32_e32 vcc_lo, 30, v2
	s_delay_alu instid0(VALU_DEP_2) | instskip(SKIP_1) | instid1(VALU_DEP_2)
	v_dual_add_f32 v3, v3, v4 :: v_dual_lshlrev_b32 v5, 2, v5
	v_cndmask_b32_e64 v11, 0, 2, vcc_lo
	v_cndmask_b32_e64 v3, v4, v3, s2
	v_min_u32_e32 v4, 0x100, v17
	s_delay_alu instid0(VALU_DEP_3) | instskip(SKIP_2) | instid1(VALU_DEP_1)
	v_add_lshl_u32 v11, v11, v2, 2
	ds_bpermute_b32 v5, v5, v3
	v_sub_nc_u32_e64 v10, v4, v10 clamp
	v_cmp_lt_u32_e32 vcc_lo, v12, v10
	v_cndmask_b32_e64 v12, 0, 4, s0
	v_cmp_lt_u32_e64 s0, v13, v10
	v_add_nc_u32_e32 v13, 4, v2
	s_delay_alu instid0(VALU_DEP_3) | instskip(SKIP_2) | instid1(VALU_DEP_1)
	v_add_lshl_u32 v12, v12, v2, 2
	s_wait_dscnt 0x0
	v_add_f32_e32 v5, v3, v5
	v_cndmask_b32_e32 v5, v3, v5, vcc_lo
	ds_bpermute_b32 v11, v11, v5
	s_wait_dscnt 0x0
	v_add_f32_e32 v11, v5, v11
	s_delay_alu instid0(VALU_DEP_1)
	v_cndmask_b32_e64 v5, v5, v11, s0
	v_cmp_gt_u32_e64 s0, 24, v2
	ds_bpermute_b32 v11, v12, v5
	v_cndmask_b32_e64 v12, 0, 8, s0
	v_cmp_lt_u32_e64 s0, v13, v10
	v_add_nc_u32_e32 v13, 8, v2
	s_delay_alu instid0(VALU_DEP_3) | instskip(SKIP_2) | instid1(VALU_DEP_1)
	v_add_lshl_u32 v12, v12, v2, 2
	s_wait_dscnt 0x0
	v_add_f32_e32 v11, v5, v11
	v_cndmask_b32_e64 v11, v5, v11, s0
	v_cmp_lt_u32_e64 s0, v13, v10
	v_dual_add_nc_u32 v13, 16, v2 :: v_dual_lshlrev_b32 v5, 2, v2
	ds_bpermute_b32 v12, v12, v11
	s_wait_dscnt 0x0
	v_dual_add_f32 v12, v11, v12 :: v_dual_bitop2_b32 v14, 64, v5 bitop3:0x54
	s_delay_alu instid0(VALU_DEP_1) | instskip(SKIP_4) | instid1(VALU_DEP_1)
	v_cndmask_b32_e64 v11, v11, v12, s0
	v_cmp_lt_u32_e64 s0, v13, v10
	ds_bpermute_b32 v12, v14, v11
	s_wait_dscnt 0x0
	v_add_f32_e32 v12, v11, v12
	v_cndmask_b32_e64 v10, v11, v12, s0
	s_mov_b32 s0, exec_lo
	s_delay_alu instid0(VALU_DEP_1)
	v_cndmask_b32_e32 v3, v3, v10, vcc_lo
	v_cmpx_eq_u32_e32 0, v2
; %bb.754:
	v_lshrrev_b32_e32 v10, 3, v50
	s_delay_alu instid0(VALU_DEP_1)
	v_and_b32_e32 v10, 0x7c, v10
	ds_store_b32 v10, v3 offset:192
; %bb.755:
	s_or_b32 exec_lo, exec_lo, s0
	s_delay_alu instid0(SALU_CYCLE_1)
	s_mov_b32 s1, exec_lo
	s_wait_storecnt 0x0
	s_wait_loadcnt_dscnt 0x0
	s_barrier_signal -1
	s_barrier_wait -1
	v_cmpx_gt_u32_e32 8, v50
	s_cbranch_execz .LBB27_757
; %bb.756:
	ds_load_b32 v3, v5 offset:192
	v_and_b32_e32 v10, 7, v2
	v_or_b32_e32 v5, 16, v5
	s_delay_alu instid0(VALU_DEP_2) | instskip(SKIP_1) | instid1(VALU_DEP_1)
	v_cmp_ne_u32_e32 vcc_lo, 7, v10
	v_add_co_ci_u32_e64 v11, null, 0, v2, vcc_lo
	v_dual_lshlrev_b32 v11, 2, v11 :: v_dual_add_nc_u32 v4, 31, v4
	v_add_nc_u32_e32 v13, 1, v10
	v_cmp_gt_u32_e32 vcc_lo, 6, v10
	s_wait_dscnt 0x0
	ds_bpermute_b32 v11, v11, v3
	v_lshrrev_b32_e32 v4, 5, v4
	v_cndmask_b32_e64 v12, 0, 2, vcc_lo
	s_delay_alu instid0(VALU_DEP_1) | instskip(SKIP_3) | instid1(VALU_DEP_2)
	v_add_lshl_u32 v2, v12, v2, 2
	s_wait_dscnt 0x0
	v_dual_add_f32 v11, v3, v11 :: v_dual_add_nc_u32 v12, 2, v10
	v_cmp_lt_u32_e32 vcc_lo, v13, v4
	v_cmp_lt_u32_e64 s0, v12, v4
	s_delay_alu instid0(VALU_DEP_3) | instskip(SKIP_3) | instid1(VALU_DEP_1)
	v_cndmask_b32_e32 v11, v3, v11, vcc_lo
	ds_bpermute_b32 v2, v2, v11
	s_wait_dscnt 0x0
	v_add_f32_e32 v2, v11, v2
	v_cndmask_b32_e64 v2, v11, v2, s0
	ds_bpermute_b32 v5, v5, v2
	s_wait_dscnt 0x0
	v_dual_add_f32 v5, v2, v5 :: v_dual_add_nc_u32 v10, 4, v10
	s_delay_alu instid0(VALU_DEP_1) | instskip(NEXT) | instid1(VALU_DEP_1)
	v_cmp_lt_u32_e64 s0, v10, v4
	v_cndmask_b32_e64 v2, v2, v5, s0
	s_delay_alu instid0(VALU_DEP_1)
	v_cndmask_b32_e32 v3, v3, v2, vcc_lo
.LBB27_757:
	s_or_b32 exec_lo, exec_lo, s1
	s_delay_alu instid0(SALU_CYCLE_1)
	s_or_b32 exec_lo, exec_lo, s17
	v_cmp_eq_u32_e32 vcc_lo, 0, v50
	s_and_b32 exec_lo, exec_lo, vcc_lo
	s_cbranch_execnz .LBB27_14
	s_branch .LBB27_15
.LBB27_758:
	s_or_b32 exec_lo, exec_lo, s17
	v_add_min_u32_e64 v5, 0x80000001, v18, v18
	s_delay_alu instid0(VALU_DEP_1)
	v_add_min_u32_e64 v15, 0x80000001, v5, v5
.LBB27_759:
	s_or_b32 exec_lo, exec_lo, s3
	v_mov_b32_e32 v5, 0
	s_movk_i32 s5, 0x1388
	s_brev_b32 s6, 12
.LBB27_760:                             ; =>This Inner Loop Header: Depth=1
	v_mul_hi_u32 v14, 0xbc8f1391, v15
	s_add_co_i32 s5, s5, -2
	s_delay_alu instid0(VALU_DEP_2) | instskip(SKIP_1) | instid1(VALU_DEP_2)
	v_add_f32_e32 v23, 1.0, v5
	s_cmp_lg_u32 s5, 0
	v_lshrrev_b32_e32 v14, 15, v14
	s_delay_alu instid0(VALU_DEP_1) | instskip(NEXT) | instid1(VALU_DEP_1)
	v_mul_u32_u24_e32 v16, 0xadc8, v14
	v_sub_nc_u32_e32 v15, v15, v16
	v_mul_u32_u24_e32 v14, 0xd47, v14
	s_delay_alu instid0(VALU_DEP_2) | instskip(NEXT) | instid1(VALU_DEP_2)
	v_mul_lo_u32 v15, 0xbc8f, v15
	v_xor_b32_e32 v16, 0x7fffffff, v14
	v_sub_nc_u32_e32 v17, 0, v14
	s_delay_alu instid0(VALU_DEP_3) | instskip(NEXT) | instid1(VALU_DEP_2)
	v_cmp_lt_u32_e32 vcc_lo, v15, v14
	v_cndmask_b32_e32 v14, v17, v16, vcc_lo
	s_delay_alu instid0(VALU_DEP_1) | instskip(NEXT) | instid1(VALU_DEP_1)
	v_add_nc_u32_e32 v14, v14, v15
	v_mul_hi_u32 v15, 0xbc8f1391, v14
	s_delay_alu instid0(VALU_DEP_1) | instskip(NEXT) | instid1(VALU_DEP_1)
	v_lshrrev_b32_e32 v15, 15, v15
	v_mul_u32_u24_e32 v16, 0xadc8, v15
	v_mul_u32_u24_e32 v15, 0xd47, v15
	s_delay_alu instid0(VALU_DEP_1) | instskip(SKIP_2) | instid1(VALU_DEP_3)
	v_dual_sub_nc_u32 v16, v14, v16 :: v_dual_sub_nc_u32 v18, 0, v15
	v_xor_b32_e32 v17, 0x7fffffff, v15
	v_add_nc_u32_e32 v14, -1, v14
	v_mul_lo_u32 v16, 0xbc8f, v16
	s_delay_alu instid0(VALU_DEP_1) | instskip(NEXT) | instid1(VALU_DEP_4)
	v_cmp_lt_u32_e32 vcc_lo, v16, v15
	v_cndmask_b32_e32 v15, v18, v17, vcc_lo
	s_delay_alu instid0(VALU_DEP_1) | instskip(NEXT) | instid1(VALU_DEP_1)
	v_add_nc_u32_e32 v15, v15, v16
	v_mul_hi_u32 v16, 0xbc8f1391, v15
	s_delay_alu instid0(VALU_DEP_1) | instskip(NEXT) | instid1(VALU_DEP_1)
	v_lshrrev_b32_e32 v16, 15, v16
	v_mul_u32_u24_e32 v17, 0xadc8, v16
	v_mul_u32_u24_e32 v16, 0xd47, v16
	s_delay_alu instid0(VALU_DEP_1) | instskip(SKIP_2) | instid1(VALU_DEP_3)
	v_dual_sub_nc_u32 v19, 0, v16 :: v_dual_sub_nc_u32 v17, v15, v17
	v_xor_b32_e32 v18, 0x7fffffff, v16
	v_add_nc_u32_e32 v15, -1, v15
	v_mul_lo_u32 v17, 0xbc8f, v17
	s_delay_alu instid0(VALU_DEP_1) | instskip(NEXT) | instid1(VALU_DEP_4)
	v_cmp_lt_u32_e32 vcc_lo, v17, v16
	v_cndmask_b32_e32 v16, v19, v18, vcc_lo
	s_delay_alu instid0(VALU_DEP_1) | instskip(NEXT) | instid1(VALU_DEP_1)
	v_add_nc_u32_e32 v18, v16, v17
	v_mul_hi_u32 v16, 0xbc8f1391, v18
	s_delay_alu instid0(VALU_DEP_1) | instskip(NEXT) | instid1(VALU_DEP_1)
	v_lshrrev_b32_e32 v16, 15, v16
	v_mul_u32_u24_e32 v17, 0xadc8, v16
	s_delay_alu instid0(VALU_DEP_1) | instskip(NEXT) | instid1(VALU_DEP_1)
	v_sub_nc_u32_e32 v17, v18, v17
	v_mul_lo_u32 v19, 0xbc8f, v17
	v_mul_u32_u24_e32 v17, 0xd47, v16
	v_cvt_f32_u32_e32 v16, v14
	s_delay_alu instid0(VALU_DEP_2) | instskip(SKIP_3) | instid1(VALU_DEP_3)
	v_xor_b32_e32 v14, 0x7fffffff, v17
	v_sub_nc_u32_e32 v24, 0, v17
	v_cmp_lt_u32_e32 vcc_lo, v19, v17
	v_cvt_f32_u32_e32 v17, v15
	v_cndmask_b32_e32 v14, v24, v14, vcc_lo
	s_delay_alu instid0(VALU_DEP_2) | instskip(NEXT) | instid1(VALU_DEP_2)
	v_pk_fma_f32 v[16:17], v[16:17], s[6:7], 0 op_sel_hi:[1,0,0]
	v_dual_add_nc_u32 v15, v14, v19 :: v_dual_add_nc_u32 v14, -1, v18
	s_delay_alu instid0(VALU_DEP_2) | instskip(NEXT) | instid1(VALU_DEP_2)
	v_pk_mul_f32 v[16:17], v[16:17], v[16:17]
	v_add_nc_u32_e32 v19, -1, v15
	s_delay_alu instid0(VALU_DEP_3) | instskip(NEXT) | instid1(VALU_DEP_3)
	v_cvt_f32_u32_e32 v18, v14
	v_add_f32_e32 v14, v16, v17
	s_delay_alu instid0(VALU_DEP_3) | instskip(NEXT) | instid1(VALU_DEP_2)
	v_cvt_f32_u32_e32 v19, v19
	v_cmp_gt_f32_e32 vcc_lo, 0xf800000, v14
	s_delay_alu instid0(VALU_DEP_2) | instskip(SKIP_1) | instid1(VALU_DEP_2)
	v_pk_fma_f32 v[16:17], v[18:19], s[6:7], 0 op_sel_hi:[1,0,0]
	v_mul_f32_e32 v18, 0x4f800000, v14
	v_pk_mul_f32 v[16:17], v[16:17], v[16:17]
	s_delay_alu instid0(VALU_DEP_1) | instskip(NEXT) | instid1(VALU_DEP_1)
	v_add_f32_e32 v16, v16, v17
	v_cmp_gt_f32_e64 s3, 0xf800000, v16
	s_delay_alu instid0(VALU_DEP_4) | instskip(SKIP_1) | instid1(VALU_DEP_1)
	v_cndmask_b32_e32 v14, v14, v18, vcc_lo
	v_mul_f32_e32 v18, 0x4f800000, v16
	v_cndmask_b32_e64 v16, v16, v18, s3
	s_delay_alu instid0(VALU_DEP_3) | instskip(NEXT) | instid1(VALU_DEP_1)
	v_sqrt_f32_e32 v17, v14
	v_sqrt_f32_e32 v25, v16
	s_delay_alu instid0(TRANS32_DEP_2) | instskip(NEXT) | instid1(VALU_DEP_1)
	v_dual_add_nc_u32 v19, -1, v17 :: v_dual_add_nc_u32 v18, 1, v17
	v_fma_f32 v24, -v19, v17, v14
	s_delay_alu instid0(VALU_DEP_1) | instskip(NEXT) | instid1(VALU_DEP_1)
	v_cmp_ge_f32_e64 s4, 0, v24
	v_dual_fma_f32 v26, -v18, v17, v14 :: v_dual_cndmask_b32 v17, v17, v19, s4
	s_delay_alu instid0(VALU_DEP_1)
	v_cmp_lt_f32_e64 s4, 0, v26
	s_delay_alu instid0(TRANS32_DEP_1) | instid1(VALU_DEP_1)
	v_dual_add_nc_u32 v19, -1, v25 :: v_dual_cndmask_b32 v17, v17, v18, s4
	s_delay_alu instid0(VALU_DEP_1) | instskip(NEXT) | instid1(VALU_DEP_1)
	v_dual_add_nc_u32 v18, 1, v25 :: v_dual_fma_f32 v24, -v19, v25, v16
	v_fma_f32 v27, -v18, v25, v16
	s_delay_alu instid0(VALU_DEP_2) | instskip(NEXT) | instid1(VALU_DEP_1)
	v_cmp_ge_f32_e64 s4, 0, v24
	v_cndmask_b32_e64 v19, v25, v19, s4
	s_delay_alu instid0(VALU_DEP_3) | instskip(NEXT) | instid1(VALU_DEP_1)
	v_cmp_lt_f32_e64 s4, 0, v27
	v_cndmask_b32_e64 v18, v19, v18, s4
	v_mul_f32_e32 v26, 0x37800000, v17
	s_delay_alu instid0(VALU_DEP_1) | instskip(SKIP_1) | instid1(VALU_DEP_2)
	v_cndmask_b32_e32 v17, v17, v26, vcc_lo
	v_cmp_class_f32_e64 vcc_lo, v14, 0x260
	v_cndmask_b32_e32 v14, v17, v14, vcc_lo
	v_mul_f32_e32 v17, 0x37800000, v18
	s_delay_alu instid0(VALU_DEP_2) | instskip(NEXT) | instid1(VALU_DEP_2)
	v_cmp_nge_f32_e32 vcc_lo, 1.0, v14
	v_cndmask_b32_e64 v14, v18, v17, s3
	v_cndmask_b32_e32 v5, v23, v5, vcc_lo
	v_cmp_class_f32_e64 vcc_lo, v16, 0x260
	s_delay_alu instid0(VALU_DEP_2) | instskip(NEXT) | instid1(VALU_DEP_1)
	v_dual_add_f32 v17, 1.0, v5 :: v_dual_cndmask_b32 v14, v14, v16
	v_cmp_nge_f32_e32 vcc_lo, 1.0, v14
	s_delay_alu instid0(VALU_DEP_2)
	v_cndmask_b32_e32 v5, v17, v5, vcc_lo
	s_cbranch_scc1 .LBB27_760
; %bb.761:
	s_delay_alu instid0(VALU_DEP_1) | instskip(NEXT) | instid1(VALU_DEP_1)
	v_mul_f32_e32 v5, 4.0, v5
	v_div_scale_f32 v14, null, 0x459c4000, 0x459c4000, v5
	s_delay_alu instid0(VALU_DEP_1) | instskip(SKIP_1) | instid1(TRANS32_DEP_1)
	v_rcp_f32_e32 v15, v14
	v_nop
	v_fma_f32 v16, -v14, v15, 1.0
	s_delay_alu instid0(VALU_DEP_1) | instskip(SKIP_1) | instid1(VALU_DEP_1)
	v_fmac_f32_e32 v15, v16, v15
	v_div_scale_f32 v16, vcc_lo, v5, 0x459c4000, v5
	v_mul_f32_e32 v17, v16, v15
	s_delay_alu instid0(VALU_DEP_1) | instskip(NEXT) | instid1(VALU_DEP_1)
	v_fma_f32 v18, -v14, v17, v16
	v_fmac_f32_e32 v17, v18, v15
	s_delay_alu instid0(VALU_DEP_1) | instskip(NEXT) | instid1(VALU_DEP_1)
	v_fma_f32 v14, -v14, v17, v16
	v_div_fmas_f32 v14, v14, v15, v17
	s_delay_alu instid0(VALU_DEP_1)
	v_div_fixup_f32 v5, v14, 0x459c4000, v5
.LBB27_762:
	s_or_b32 exec_lo, exec_lo, s16
	v_or_b32_e32 v14, 0x400, v50
	s_delay_alu instid0(VALU_DEP_1)
	v_cmp_lt_u32_e64 s3, v14, v21
	s_and_saveexec_b32 s16, s3
	s_cbranch_execz .LBB27_792
; %bb.763:
	v_dual_mov_b32 v15, 1 :: v_dual_add_nc_u32 v6, v22, v14
	s_mov_b32 s5, 0
	s_mov_b32 s17, exec_lo
	s_delay_alu instid0(VALU_DEP_1) | instskip(NEXT) | instid1(VALU_DEP_1)
	v_mul_lo_u32 v14, 0x1388, v6
	v_cmpx_ne_u32_e32 0, v14
	s_cbranch_execz .LBB27_789
; %bb.764:
	v_mov_b32_e32 v15, 0
	v_mov_b64_e32 v[18:19], 1
	s_mov_b64 s[14:15], 0xbc8f
	s_mov_b64 s[6:7], 0xfffffffd
	s_mov_b64 s[8:9], 0xffffffff
	v_mov_b64_e32 v[16:17], v[14:15]
	s_mov_b64 s[12:13], 0x80000001
	s_mov_b32 s18, 0
	s_branch .LBB27_766
.LBB27_765:                             ;   in Loop: Header=BB27_766 Depth=1
	s_or_b32 exec_lo, exec_lo, s4
	s_mul_u64 s[14:15], s[14:15], s[14:15]
	s_mov_b32 s23, s5
	s_and_b64 s[24:25], s[14:15], s[6:7]
	s_mov_b32 s4, s15
	s_mul_u64 s[26:27], s[24:25], 3
	s_mul_u64 s[40:41], s[4:5], 3
	s_mov_b32 s22, s27
	s_mul_u64 s[24:25], s[24:25], s[12:13]
	s_add_nc_u64 s[22:23], s[40:41], s[22:23]
	v_lshrrev_b64 v[24:25], 1, v[16:17]
	s_and_b64 s[40:41], s[22:23], s[8:9]
	s_mov_b32 s27, s5
	s_add_nc_u64 s[24:25], s[24:25], s[40:41]
	s_mov_b32 s43, s5
	s_mov_b32 s26, s23
	;; [unrolled: 1-line block ×3, first 2 shown]
	s_mul_u64 s[24:25], s[4:5], s[12:13]
	s_add_nc_u64 s[22:23], s[26:27], s[42:43]
	v_cmp_gt_u64_e32 vcc_lo, 2, v[16:17]
	s_add_nc_u64 s[22:23], s[24:25], s[22:23]
	v_mov_b64_e32 v[16:17], v[24:25]
	s_lshr_b64 s[22:23], s[22:23], 30
	s_delay_alu instid0(SALU_CYCLE_1)
	s_mul_u64 s[22:23], s[22:23], 0x7fffffff
	s_or_b32 s18, vcc_lo, s18
	s_sub_nc_u64 s[14:15], s[14:15], s[22:23]
	s_and_not1_b32 exec_lo, exec_lo, s18
	s_cbranch_execz .LBB27_788
.LBB27_766:                             ; =>This Inner Loop Header: Depth=1
	s_delay_alu instid0(VALU_DEP_1) | instskip(SKIP_1) | instid1(VALU_DEP_1)
	v_and_b32_e32 v6, 1, v16
	s_mov_b32 s4, exec_lo
	v_cmpx_eq_u32_e32 1, v6
	s_cbranch_execz .LBB27_765
; %bb.767:                              ;   in Loop: Header=BB27_766 Depth=1
	v_mul_u64_e32 v[18:19], s[14:15], v[18:19]
	s_delay_alu instid0(VALU_DEP_1) | instskip(NEXT) | instid1(VALU_DEP_1)
	v_mov_b32_e32 v14, v18
	v_mul_u64_e32 v[24:25], 5, v[14:15]
	s_delay_alu instid0(VALU_DEP_1) | instskip(NEXT) | instid1(VALU_DEP_1)
	v_mov_b32_e32 v14, v25
	v_mad_nc_u64_u32 v[24:25], v19, 5, v[14:15]
	s_delay_alu instid0(VALU_DEP_1) | instskip(NEXT) | instid1(VALU_DEP_1)
	v_dual_mov_b32 v14, v25 :: v_dual_mov_b32 v25, v15
	v_mad_nc_u64_u32 v[24:25], v18, 2, v[24:25]
	s_delay_alu instid0(VALU_DEP_1) | instskip(NEXT) | instid1(VALU_DEP_1)
	v_dual_mov_b32 v24, v25 :: v_dual_mov_b32 v25, v15
	v_add_nc_u64_e32 v[24:25], v[14:15], v[24:25]
	s_delay_alu instid0(VALU_DEP_1) | instskip(NEXT) | instid1(VALU_DEP_1)
	v_mad_nc_u64_u32 v[24:25], v19, 2, v[24:25]
	v_sub_nc_u64_e32 v[26:27], v[18:19], v[24:25]
	s_delay_alu instid0(VALU_DEP_1) | instskip(NEXT) | instid1(VALU_DEP_1)
	v_lshrrev_b64 v[26:27], 1, v[26:27]
	v_add_nc_u64_e32 v[24:25], v[26:27], v[24:25]
	s_delay_alu instid0(VALU_DEP_1) | instskip(NEXT) | instid1(VALU_DEP_1)
	v_lshrrev_b64 v[24:25], 30, v[24:25]
	v_mul_u64_e32 v[24:25], 0x7fffffff, v[24:25]
	s_delay_alu instid0(VALU_DEP_1)
	v_sub_nc_u64_e32 v[18:19], v[18:19], v[24:25]
	s_branch .LBB27_765
.LBB27_768:
	s_or_b32 exec_lo, exec_lo, s15
	v_add_min_u32_e64 v5, 0x80000001, v26, v26
	s_delay_alu instid0(VALU_DEP_1)
	v_add_min_u32_e64 v23, 0x80000001, v5, v5
.LBB27_769:
	s_or_b32 exec_lo, exec_lo, s3
	v_mov_b32_e32 v5, 0
	s_movk_i32 s5, 0x1388
	s_brev_b32 s6, 12
.LBB27_770:                             ; =>This Inner Loop Header: Depth=1
	v_mul_hi_u32 v22, 0xbc8f1391, v23
	s_add_co_i32 s5, s5, -2
	s_delay_alu instid0(VALU_DEP_2) | instskip(SKIP_1) | instid1(VALU_DEP_2)
	v_add_f32_e32 v31, 1.0, v5
	s_cmp_lg_u32 s5, 0
	v_lshrrev_b32_e32 v22, 15, v22
	s_delay_alu instid0(VALU_DEP_1) | instskip(NEXT) | instid1(VALU_DEP_1)
	v_mul_u32_u24_e32 v24, 0xadc8, v22
	v_sub_nc_u32_e32 v23, v23, v24
	v_mul_u32_u24_e32 v22, 0xd47, v22
	s_delay_alu instid0(VALU_DEP_2) | instskip(NEXT) | instid1(VALU_DEP_2)
	v_mul_lo_u32 v23, 0xbc8f, v23
	v_xor_b32_e32 v24, 0x7fffffff, v22
	v_sub_nc_u32_e32 v25, 0, v22
	s_delay_alu instid0(VALU_DEP_3) | instskip(NEXT) | instid1(VALU_DEP_2)
	v_cmp_lt_u32_e32 vcc_lo, v23, v22
	v_cndmask_b32_e32 v22, v25, v24, vcc_lo
	s_delay_alu instid0(VALU_DEP_1) | instskip(NEXT) | instid1(VALU_DEP_1)
	v_add_nc_u32_e32 v22, v22, v23
	v_mul_hi_u32 v23, 0xbc8f1391, v22
	s_delay_alu instid0(VALU_DEP_1) | instskip(NEXT) | instid1(VALU_DEP_1)
	v_lshrrev_b32_e32 v23, 15, v23
	v_mul_u32_u24_e32 v24, 0xadc8, v23
	v_mul_u32_u24_e32 v23, 0xd47, v23
	s_delay_alu instid0(VALU_DEP_1) | instskip(SKIP_2) | instid1(VALU_DEP_3)
	v_dual_sub_nc_u32 v24, v22, v24 :: v_dual_sub_nc_u32 v26, 0, v23
	v_xor_b32_e32 v25, 0x7fffffff, v23
	v_add_nc_u32_e32 v22, -1, v22
	v_mul_lo_u32 v24, 0xbc8f, v24
	s_delay_alu instid0(VALU_DEP_1) | instskip(NEXT) | instid1(VALU_DEP_4)
	v_cmp_lt_u32_e32 vcc_lo, v24, v23
	v_cndmask_b32_e32 v23, v26, v25, vcc_lo
	s_delay_alu instid0(VALU_DEP_1) | instskip(NEXT) | instid1(VALU_DEP_1)
	v_add_nc_u32_e32 v23, v23, v24
	v_mul_hi_u32 v24, 0xbc8f1391, v23
	s_delay_alu instid0(VALU_DEP_1) | instskip(NEXT) | instid1(VALU_DEP_1)
	v_lshrrev_b32_e32 v24, 15, v24
	v_mul_u32_u24_e32 v25, 0xadc8, v24
	v_mul_u32_u24_e32 v24, 0xd47, v24
	s_delay_alu instid0(VALU_DEP_1) | instskip(SKIP_2) | instid1(VALU_DEP_3)
	v_dual_sub_nc_u32 v27, 0, v24 :: v_dual_sub_nc_u32 v25, v23, v25
	v_xor_b32_e32 v26, 0x7fffffff, v24
	v_add_nc_u32_e32 v23, -1, v23
	v_mul_lo_u32 v25, 0xbc8f, v25
	s_delay_alu instid0(VALU_DEP_1) | instskip(NEXT) | instid1(VALU_DEP_4)
	v_cmp_lt_u32_e32 vcc_lo, v25, v24
	v_cndmask_b32_e32 v24, v27, v26, vcc_lo
	s_delay_alu instid0(VALU_DEP_1) | instskip(NEXT) | instid1(VALU_DEP_1)
	v_add_nc_u32_e32 v26, v24, v25
	v_mul_hi_u32 v24, 0xbc8f1391, v26
	s_delay_alu instid0(VALU_DEP_1) | instskip(NEXT) | instid1(VALU_DEP_1)
	v_lshrrev_b32_e32 v24, 15, v24
	v_mul_u32_u24_e32 v25, 0xadc8, v24
	s_delay_alu instid0(VALU_DEP_1) | instskip(NEXT) | instid1(VALU_DEP_1)
	v_sub_nc_u32_e32 v25, v26, v25
	v_mul_lo_u32 v27, 0xbc8f, v25
	v_mul_u32_u24_e32 v25, 0xd47, v24
	v_cvt_f32_u32_e32 v24, v22
	s_delay_alu instid0(VALU_DEP_2) | instskip(SKIP_3) | instid1(VALU_DEP_3)
	v_xor_b32_e32 v22, 0x7fffffff, v25
	v_sub_nc_u32_e32 v32, 0, v25
	v_cmp_lt_u32_e32 vcc_lo, v27, v25
	v_cvt_f32_u32_e32 v25, v23
	v_cndmask_b32_e32 v22, v32, v22, vcc_lo
	s_delay_alu instid0(VALU_DEP_2) | instskip(NEXT) | instid1(VALU_DEP_2)
	v_pk_fma_f32 v[24:25], v[24:25], s[6:7], 0 op_sel_hi:[1,0,0]
	v_dual_add_nc_u32 v23, v22, v27 :: v_dual_add_nc_u32 v22, -1, v26
	s_delay_alu instid0(VALU_DEP_2) | instskip(NEXT) | instid1(VALU_DEP_2)
	v_pk_mul_f32 v[24:25], v[24:25], v[24:25]
	v_add_nc_u32_e32 v27, -1, v23
	s_delay_alu instid0(VALU_DEP_3) | instskip(NEXT) | instid1(VALU_DEP_3)
	v_cvt_f32_u32_e32 v26, v22
	v_add_f32_e32 v22, v24, v25
	s_delay_alu instid0(VALU_DEP_3) | instskip(NEXT) | instid1(VALU_DEP_2)
	v_cvt_f32_u32_e32 v27, v27
	v_cmp_gt_f32_e32 vcc_lo, 0xf800000, v22
	s_delay_alu instid0(VALU_DEP_2) | instskip(SKIP_1) | instid1(VALU_DEP_2)
	v_pk_fma_f32 v[24:25], v[26:27], s[6:7], 0 op_sel_hi:[1,0,0]
	v_mul_f32_e32 v26, 0x4f800000, v22
	v_pk_mul_f32 v[24:25], v[24:25], v[24:25]
	s_delay_alu instid0(VALU_DEP_1) | instskip(NEXT) | instid1(VALU_DEP_1)
	v_add_f32_e32 v24, v24, v25
	v_cmp_gt_f32_e64 s3, 0xf800000, v24
	s_delay_alu instid0(VALU_DEP_4) | instskip(SKIP_1) | instid1(VALU_DEP_1)
	v_cndmask_b32_e32 v22, v22, v26, vcc_lo
	v_mul_f32_e32 v26, 0x4f800000, v24
	v_cndmask_b32_e64 v24, v24, v26, s3
	s_delay_alu instid0(VALU_DEP_3) | instskip(NEXT) | instid1(VALU_DEP_1)
	v_sqrt_f32_e32 v25, v22
	v_sqrt_f32_e32 v33, v24
	s_delay_alu instid0(TRANS32_DEP_2) | instskip(NEXT) | instid1(VALU_DEP_1)
	v_dual_add_nc_u32 v27, -1, v25 :: v_dual_add_nc_u32 v26, 1, v25
	v_fma_f32 v32, -v27, v25, v22
	s_delay_alu instid0(VALU_DEP_1) | instskip(NEXT) | instid1(VALU_DEP_1)
	v_cmp_ge_f32_e64 s4, 0, v32
	v_dual_fma_f32 v34, -v26, v25, v22 :: v_dual_cndmask_b32 v25, v25, v27, s4
	s_delay_alu instid0(VALU_DEP_1)
	v_cmp_lt_f32_e64 s4, 0, v34
	s_delay_alu instid0(TRANS32_DEP_1) | instid1(VALU_DEP_1)
	v_dual_add_nc_u32 v27, -1, v33 :: v_dual_cndmask_b32 v25, v25, v26, s4
	s_delay_alu instid0(VALU_DEP_1) | instskip(NEXT) | instid1(VALU_DEP_1)
	v_dual_add_nc_u32 v26, 1, v33 :: v_dual_fma_f32 v32, -v27, v33, v24
	v_fma_f32 v35, -v26, v33, v24
	s_delay_alu instid0(VALU_DEP_2) | instskip(NEXT) | instid1(VALU_DEP_1)
	v_cmp_ge_f32_e64 s4, 0, v32
	v_cndmask_b32_e64 v27, v33, v27, s4
	s_delay_alu instid0(VALU_DEP_3) | instskip(NEXT) | instid1(VALU_DEP_1)
	v_cmp_lt_f32_e64 s4, 0, v35
	v_cndmask_b32_e64 v26, v27, v26, s4
	v_mul_f32_e32 v34, 0x37800000, v25
	s_delay_alu instid0(VALU_DEP_1) | instskip(SKIP_1) | instid1(VALU_DEP_2)
	v_cndmask_b32_e32 v25, v25, v34, vcc_lo
	v_cmp_class_f32_e64 vcc_lo, v22, 0x260
	v_cndmask_b32_e32 v22, v25, v22, vcc_lo
	v_mul_f32_e32 v25, 0x37800000, v26
	s_delay_alu instid0(VALU_DEP_2) | instskip(NEXT) | instid1(VALU_DEP_2)
	v_cmp_nge_f32_e32 vcc_lo, 1.0, v22
	v_cndmask_b32_e64 v22, v26, v25, s3
	v_cndmask_b32_e32 v5, v31, v5, vcc_lo
	v_cmp_class_f32_e64 vcc_lo, v24, 0x260
	s_delay_alu instid0(VALU_DEP_2) | instskip(NEXT) | instid1(VALU_DEP_1)
	v_dual_add_f32 v25, 1.0, v5 :: v_dual_cndmask_b32 v22, v22, v24
	v_cmp_nge_f32_e32 vcc_lo, 1.0, v22
	s_delay_alu instid0(VALU_DEP_2)
	v_cndmask_b32_e32 v5, v25, v5, vcc_lo
	s_cbranch_scc1 .LBB27_770
; %bb.771:
	s_delay_alu instid0(VALU_DEP_1) | instskip(NEXT) | instid1(VALU_DEP_1)
	v_mul_f32_e32 v5, 4.0, v5
	v_div_scale_f32 v22, null, 0x459c4000, 0x459c4000, v5
	s_delay_alu instid0(VALU_DEP_1) | instskip(SKIP_1) | instid1(TRANS32_DEP_1)
	v_rcp_f32_e32 v23, v22
	v_nop
	v_fma_f32 v24, -v22, v23, 1.0
	s_delay_alu instid0(VALU_DEP_1) | instskip(SKIP_1) | instid1(VALU_DEP_1)
	v_fmac_f32_e32 v23, v24, v23
	v_div_scale_f32 v24, vcc_lo, v5, 0x459c4000, v5
	v_mul_f32_e32 v25, v24, v23
	s_delay_alu instid0(VALU_DEP_1) | instskip(NEXT) | instid1(VALU_DEP_1)
	v_fma_f32 v26, -v22, v25, v24
	v_fmac_f32_e32 v25, v26, v23
	s_delay_alu instid0(VALU_DEP_1) | instskip(NEXT) | instid1(VALU_DEP_1)
	v_fma_f32 v22, -v22, v25, v24
	v_div_fmas_f32 v22, v22, v23, v25
	s_delay_alu instid0(VALU_DEP_1)
	v_div_fixup_f32 v5, v22, 0x459c4000, v5
.LBB27_772:
	s_or_b32 exec_lo, exec_lo, s14
	v_or_b32_e32 v22, 0x400, v50
	s_delay_alu instid0(VALU_DEP_1)
	v_cmp_lt_u32_e64 s3, v22, v29
	s_and_saveexec_b32 s14, s3
	s_cbranch_execz .LBB27_802
; %bb.773:
	v_dual_mov_b32 v23, 1 :: v_dual_add_nc_u32 v6, v30, v22
	s_mov_b32 s5, 0
	s_mov_b32 s15, exec_lo
	s_delay_alu instid0(VALU_DEP_1) | instskip(NEXT) | instid1(VALU_DEP_1)
	v_mul_lo_u32 v22, 0x1388, v6
	v_cmpx_ne_u32_e32 0, v22
	s_cbranch_execz .LBB27_799
; %bb.774:
	v_mov_b32_e32 v23, 0
	v_mov_b64_e32 v[26:27], 1
	s_mov_b64 s[12:13], 0xbc8f
	s_mov_b64 s[6:7], 0xfffffffd
	;; [unrolled: 1-line block ×3, first 2 shown]
	v_mov_b64_e32 v[24:25], v[22:23]
	s_mov_b64 s[10:11], 0x80000001
	s_mov_b32 s16, 0
	s_branch .LBB27_776
.LBB27_775:                             ;   in Loop: Header=BB27_776 Depth=1
	s_or_b32 exec_lo, exec_lo, s4
	s_mul_u64 s[12:13], s[12:13], s[12:13]
	s_mov_b32 s21, s5
	s_and_b64 s[22:23], s[12:13], s[6:7]
	s_mov_b32 s4, s13
	s_mul_u64 s[24:25], s[22:23], 3
	s_mul_u64 s[26:27], s[4:5], 3
	s_mov_b32 s20, s25
	s_mul_u64 s[22:23], s[22:23], s[10:11]
	s_add_nc_u64 s[20:21], s[26:27], s[20:21]
	v_lshrrev_b64 v[32:33], 1, v[24:25]
	s_and_b64 s[26:27], s[20:21], s[8:9]
	s_mov_b32 s25, s5
	s_add_nc_u64 s[22:23], s[22:23], s[26:27]
	s_mov_b32 s43, s5
	s_mov_b32 s24, s21
	;; [unrolled: 1-line block ×3, first 2 shown]
	s_mul_u64 s[22:23], s[4:5], s[10:11]
	s_add_nc_u64 s[20:21], s[24:25], s[42:43]
	v_cmp_gt_u64_e32 vcc_lo, 2, v[24:25]
	s_add_nc_u64 s[20:21], s[22:23], s[20:21]
	v_mov_b64_e32 v[24:25], v[32:33]
	s_lshr_b64 s[20:21], s[20:21], 30
	s_delay_alu instid0(SALU_CYCLE_1)
	s_mul_u64 s[20:21], s[20:21], 0x7fffffff
	s_or_b32 s16, vcc_lo, s16
	s_sub_nc_u64 s[12:13], s[12:13], s[20:21]
	s_and_not1_b32 exec_lo, exec_lo, s16
	s_cbranch_execz .LBB27_798
.LBB27_776:                             ; =>This Inner Loop Header: Depth=1
	s_delay_alu instid0(VALU_DEP_1) | instskip(SKIP_1) | instid1(VALU_DEP_1)
	v_and_b32_e32 v6, 1, v24
	s_mov_b32 s4, exec_lo
	v_cmpx_eq_u32_e32 1, v6
	s_cbranch_execz .LBB27_775
; %bb.777:                              ;   in Loop: Header=BB27_776 Depth=1
	v_mul_u64_e32 v[26:27], s[12:13], v[26:27]
	s_delay_alu instid0(VALU_DEP_1) | instskip(NEXT) | instid1(VALU_DEP_1)
	v_mov_b32_e32 v22, v26
	v_mul_u64_e32 v[32:33], 5, v[22:23]
	s_delay_alu instid0(VALU_DEP_1) | instskip(NEXT) | instid1(VALU_DEP_1)
	v_mov_b32_e32 v22, v33
	v_mad_nc_u64_u32 v[32:33], v27, 5, v[22:23]
	s_delay_alu instid0(VALU_DEP_1) | instskip(NEXT) | instid1(VALU_DEP_1)
	v_dual_mov_b32 v22, v33 :: v_dual_mov_b32 v33, v23
	v_mad_nc_u64_u32 v[32:33], v26, 2, v[32:33]
	s_delay_alu instid0(VALU_DEP_1) | instskip(NEXT) | instid1(VALU_DEP_1)
	v_dual_mov_b32 v32, v33 :: v_dual_mov_b32 v33, v23
	v_add_nc_u64_e32 v[32:33], v[22:23], v[32:33]
	s_delay_alu instid0(VALU_DEP_1) | instskip(NEXT) | instid1(VALU_DEP_1)
	v_mad_nc_u64_u32 v[32:33], v27, 2, v[32:33]
	v_sub_nc_u64_e32 v[34:35], v[26:27], v[32:33]
	s_delay_alu instid0(VALU_DEP_1) | instskip(NEXT) | instid1(VALU_DEP_1)
	v_lshrrev_b64 v[34:35], 1, v[34:35]
	v_add_nc_u64_e32 v[32:33], v[34:35], v[32:33]
	s_delay_alu instid0(VALU_DEP_1) | instskip(NEXT) | instid1(VALU_DEP_1)
	v_lshrrev_b64 v[32:33], 30, v[32:33]
	v_mul_u64_e32 v[32:33], 0x7fffffff, v[32:33]
	s_delay_alu instid0(VALU_DEP_1)
	v_sub_nc_u64_e32 v[26:27], v[26:27], v[32:33]
	s_branch .LBB27_775
.LBB27_778:
	s_or_b32 exec_lo, exec_lo, s15
	v_add_min_u32_e64 v3, 0x80000001, v48, v48
	s_delay_alu instid0(VALU_DEP_1)
	v_add_min_u32_e64 v37, 0x80000001, v3, v3
.LBB27_779:
	s_or_b32 exec_lo, exec_lo, s3
	v_mov_b32_e32 v3, 0
	s_movk_i32 s5, 0x1388
	s_brev_b32 s6, 12
.LBB27_780:                             ; =>This Inner Loop Header: Depth=1
	v_mul_hi_u32 v36, 0xbc8f1391, v37
	s_add_co_i32 s5, s5, -2
	s_delay_alu instid0(VALU_DEP_2) | instskip(SKIP_1) | instid1(VALU_DEP_2)
	v_add_f32_e32 v54, 1.0, v3
	s_cmp_lg_u32 s5, 0
	v_lshrrev_b32_e32 v36, 15, v36
	s_delay_alu instid0(VALU_DEP_1) | instskip(NEXT) | instid1(VALU_DEP_1)
	v_mul_u32_u24_e32 v38, 0xadc8, v36
	v_sub_nc_u32_e32 v37, v37, v38
	v_mul_u32_u24_e32 v36, 0xd47, v36
	s_delay_alu instid0(VALU_DEP_2) | instskip(NEXT) | instid1(VALU_DEP_2)
	v_mul_lo_u32 v37, 0xbc8f, v37
	v_xor_b32_e32 v38, 0x7fffffff, v36
	v_sub_nc_u32_e32 v39, 0, v36
	s_delay_alu instid0(VALU_DEP_3) | instskip(NEXT) | instid1(VALU_DEP_2)
	v_cmp_lt_u32_e32 vcc_lo, v37, v36
	v_cndmask_b32_e32 v36, v39, v38, vcc_lo
	s_delay_alu instid0(VALU_DEP_1) | instskip(NEXT) | instid1(VALU_DEP_1)
	v_add_nc_u32_e32 v36, v36, v37
	v_mul_hi_u32 v37, 0xbc8f1391, v36
	s_delay_alu instid0(VALU_DEP_1) | instskip(NEXT) | instid1(VALU_DEP_1)
	v_lshrrev_b32_e32 v37, 15, v37
	v_mul_u32_u24_e32 v38, 0xadc8, v37
	v_mul_u32_u24_e32 v37, 0xd47, v37
	s_delay_alu instid0(VALU_DEP_1) | instskip(SKIP_2) | instid1(VALU_DEP_3)
	v_dual_sub_nc_u32 v38, v36, v38 :: v_dual_sub_nc_u32 v48, 0, v37
	v_xor_b32_e32 v39, 0x7fffffff, v37
	v_add_nc_u32_e32 v36, -1, v36
	v_mul_lo_u32 v38, 0xbc8f, v38
	s_delay_alu instid0(VALU_DEP_1) | instskip(NEXT) | instid1(VALU_DEP_4)
	v_cmp_lt_u32_e32 vcc_lo, v38, v37
	v_cndmask_b32_e32 v37, v48, v39, vcc_lo
	s_delay_alu instid0(VALU_DEP_1) | instskip(NEXT) | instid1(VALU_DEP_1)
	v_add_nc_u32_e32 v37, v37, v38
	v_mul_hi_u32 v38, 0xbc8f1391, v37
	s_delay_alu instid0(VALU_DEP_1) | instskip(NEXT) | instid1(VALU_DEP_1)
	v_lshrrev_b32_e32 v38, 15, v38
	v_mul_u32_u24_e32 v39, 0xadc8, v38
	v_mul_u32_u24_e32 v38, 0xd47, v38
	s_delay_alu instid0(VALU_DEP_1) | instskip(SKIP_2) | instid1(VALU_DEP_3)
	v_dual_sub_nc_u32 v49, 0, v38 :: v_dual_sub_nc_u32 v39, v37, v39
	v_xor_b32_e32 v48, 0x7fffffff, v38
	v_add_nc_u32_e32 v37, -1, v37
	v_mul_lo_u32 v39, 0xbc8f, v39
	s_delay_alu instid0(VALU_DEP_1) | instskip(NEXT) | instid1(VALU_DEP_4)
	v_cmp_lt_u32_e32 vcc_lo, v39, v38
	v_cndmask_b32_e32 v38, v49, v48, vcc_lo
	s_delay_alu instid0(VALU_DEP_1) | instskip(NEXT) | instid1(VALU_DEP_1)
	v_add_nc_u32_e32 v48, v38, v39
	v_mul_hi_u32 v38, 0xbc8f1391, v48
	s_delay_alu instid0(VALU_DEP_1) | instskip(NEXT) | instid1(VALU_DEP_1)
	v_lshrrev_b32_e32 v38, 15, v38
	v_mul_u32_u24_e32 v39, 0xadc8, v38
	s_delay_alu instid0(VALU_DEP_1) | instskip(NEXT) | instid1(VALU_DEP_1)
	v_sub_nc_u32_e32 v39, v48, v39
	v_mul_lo_u32 v49, 0xbc8f, v39
	v_mul_u32_u24_e32 v39, 0xd47, v38
	v_cvt_f32_u32_e32 v38, v36
	s_delay_alu instid0(VALU_DEP_2) | instskip(SKIP_3) | instid1(VALU_DEP_3)
	v_xor_b32_e32 v36, 0x7fffffff, v39
	v_sub_nc_u32_e32 v55, 0, v39
	v_cmp_lt_u32_e32 vcc_lo, v49, v39
	v_cvt_f32_u32_e32 v39, v37
	v_cndmask_b32_e32 v36, v55, v36, vcc_lo
	s_delay_alu instid0(VALU_DEP_2) | instskip(NEXT) | instid1(VALU_DEP_2)
	v_pk_fma_f32 v[38:39], v[38:39], s[6:7], 0 op_sel_hi:[1,0,0]
	v_dual_add_nc_u32 v37, v36, v49 :: v_dual_add_nc_u32 v36, -1, v48
	s_delay_alu instid0(VALU_DEP_2) | instskip(NEXT) | instid1(VALU_DEP_2)
	v_pk_mul_f32 v[38:39], v[38:39], v[38:39]
	v_add_nc_u32_e32 v49, -1, v37
	s_delay_alu instid0(VALU_DEP_3) | instskip(NEXT) | instid1(VALU_DEP_3)
	v_cvt_f32_u32_e32 v48, v36
	v_add_f32_e32 v36, v38, v39
	s_delay_alu instid0(VALU_DEP_3) | instskip(NEXT) | instid1(VALU_DEP_2)
	v_cvt_f32_u32_e32 v49, v49
	v_cmp_gt_f32_e32 vcc_lo, 0xf800000, v36
	s_delay_alu instid0(VALU_DEP_2) | instskip(SKIP_1) | instid1(VALU_DEP_2)
	v_pk_fma_f32 v[38:39], v[48:49], s[6:7], 0 op_sel_hi:[1,0,0]
	v_mul_f32_e32 v48, 0x4f800000, v36
	v_pk_mul_f32 v[38:39], v[38:39], v[38:39]
	s_delay_alu instid0(VALU_DEP_1) | instskip(NEXT) | instid1(VALU_DEP_1)
	v_add_f32_e32 v38, v38, v39
	v_cmp_gt_f32_e64 s3, 0xf800000, v38
	s_delay_alu instid0(VALU_DEP_4) | instskip(SKIP_1) | instid1(VALU_DEP_1)
	v_cndmask_b32_e32 v36, v36, v48, vcc_lo
	v_mul_f32_e32 v48, 0x4f800000, v38
	v_cndmask_b32_e64 v38, v38, v48, s3
	s_delay_alu instid0(VALU_DEP_3) | instskip(NEXT) | instid1(VALU_DEP_1)
	v_sqrt_f32_e32 v39, v36
	v_sqrt_f32_e32 v64, v38
	s_delay_alu instid0(TRANS32_DEP_2) | instskip(NEXT) | instid1(VALU_DEP_1)
	v_dual_add_nc_u32 v49, -1, v39 :: v_dual_add_nc_u32 v48, 1, v39
	v_fma_f32 v55, -v49, v39, v36
	s_delay_alu instid0(VALU_DEP_1) | instskip(NEXT) | instid1(VALU_DEP_1)
	v_cmp_ge_f32_e64 s4, 0, v55
	v_dual_fma_f32 v65, -v48, v39, v36 :: v_dual_cndmask_b32 v39, v39, v49, s4
	s_delay_alu instid0(VALU_DEP_1) | instskip(NEXT) | instid1(TRANS32_DEP_1)
	v_cmp_lt_f32_e64 s4, 0, v65
	v_add_nc_u32_e32 v49, -1, v64
	s_delay_alu instid0(VALU_DEP_2) | instskip(NEXT) | instid1(VALU_DEP_2)
	v_cndmask_b32_e64 v39, v39, v48, s4
	v_dual_add_nc_u32 v48, 1, v64 :: v_dual_fma_f32 v55, -v49, v64, v38
	s_delay_alu instid0(VALU_DEP_1) | instskip(NEXT) | instid1(VALU_DEP_1)
	v_cmp_ge_f32_e64 s4, 0, v55
	v_cndmask_b32_e64 v49, v64, v49, s4
	s_delay_alu instid0(VALU_DEP_4) | instskip(NEXT) | instid1(VALU_DEP_1)
	v_mul_f32_e32 v65, 0x37800000, v39
	v_cndmask_b32_e32 v39, v39, v65, vcc_lo
	v_cmp_class_f32_e64 vcc_lo, v36, 0x260
	s_delay_alu instid0(VALU_DEP_2) | instskip(NEXT) | instid1(VALU_DEP_1)
	v_cndmask_b32_e32 v36, v39, v36, vcc_lo
	v_cmp_nge_f32_e32 vcc_lo, 1.0, v36
	s_delay_alu instid0(VALU_DEP_3) | instskip(NEXT) | instid1(VALU_DEP_1)
	v_dual_fma_f32 v66, -v48, v64, v38 :: v_dual_cndmask_b32 v3, v54, v3, vcc_lo
	v_cmp_lt_f32_e64 s4, 0, v66
	v_cmp_class_f32_e64 vcc_lo, v38, 0x260
	s_delay_alu instid0(VALU_DEP_2) | instskip(NEXT) | instid1(VALU_DEP_1)
	v_cndmask_b32_e64 v48, v49, v48, s4
	v_mul_f32_e32 v39, 0x37800000, v48
	s_delay_alu instid0(VALU_DEP_1) | instskip(NEXT) | instid1(VALU_DEP_1)
	v_cndmask_b32_e64 v36, v48, v39, s3
	v_dual_add_f32 v39, 1.0, v3 :: v_dual_cndmask_b32 v36, v36, v38
	s_delay_alu instid0(VALU_DEP_1) | instskip(NEXT) | instid1(VALU_DEP_2)
	v_cmp_nge_f32_e32 vcc_lo, 1.0, v36
	v_cndmask_b32_e32 v3, v39, v3, vcc_lo
	s_cbranch_scc1 .LBB27_780
; %bb.781:
	s_delay_alu instid0(VALU_DEP_1) | instskip(NEXT) | instid1(VALU_DEP_1)
	v_mul_f32_e32 v3, 4.0, v3
	v_div_scale_f32 v36, null, 0x459c4000, 0x459c4000, v3
	s_delay_alu instid0(VALU_DEP_1) | instskip(SKIP_1) | instid1(TRANS32_DEP_1)
	v_rcp_f32_e32 v37, v36
	v_nop
	v_fma_f32 v38, -v36, v37, 1.0
	s_delay_alu instid0(VALU_DEP_1) | instskip(SKIP_1) | instid1(VALU_DEP_1)
	v_fmac_f32_e32 v37, v38, v37
	v_div_scale_f32 v38, vcc_lo, v3, 0x459c4000, v3
	v_mul_f32_e32 v39, v38, v37
	s_delay_alu instid0(VALU_DEP_1) | instskip(NEXT) | instid1(VALU_DEP_1)
	v_fma_f32 v48, -v36, v39, v38
	v_fmac_f32_e32 v39, v48, v37
	s_delay_alu instid0(VALU_DEP_1) | instskip(NEXT) | instid1(VALU_DEP_1)
	v_fma_f32 v36, -v36, v39, v38
	v_div_fmas_f32 v36, v36, v37, v39
	s_delay_alu instid0(VALU_DEP_1)
	v_div_fixup_f32 v3, v36, 0x459c4000, v3
.LBB27_782:
	s_or_b32 exec_lo, exec_lo, s14
	v_or_b32_e32 v36, 0x400, v50
	s_delay_alu instid0(VALU_DEP_1)
	v_cmp_lt_u32_e64 s3, v36, v52
	s_and_saveexec_b32 s14, s3
	s_cbranch_execz .LBB27_812
; %bb.783:
	v_dual_mov_b32 v37, 1 :: v_dual_add_nc_u32 v4, v53, v36
	s_mov_b32 s5, 0
	s_mov_b32 s15, exec_lo
	s_delay_alu instid0(VALU_DEP_1) | instskip(NEXT) | instid1(VALU_DEP_1)
	v_mul_lo_u32 v36, 0x1388, v4
	v_cmpx_ne_u32_e32 0, v36
	s_cbranch_execz .LBB27_809
; %bb.784:
	v_mov_b32_e32 v37, 0
	v_mov_b64_e32 v[48:49], 1
	s_mov_b64 s[12:13], 0xbc8f
	s_mov_b64 s[6:7], 0xfffffffd
	;; [unrolled: 1-line block ×3, first 2 shown]
	v_mov_b64_e32 v[38:39], v[36:37]
	s_mov_b64 s[10:11], 0x80000001
	s_mov_b32 s16, 0
	s_branch .LBB27_786
.LBB27_785:                             ;   in Loop: Header=BB27_786 Depth=1
	s_or_b32 exec_lo, exec_lo, s4
	s_mul_u64 s[12:13], s[12:13], s[12:13]
	s_mov_b32 s19, s5
	s_and_b64 s[20:21], s[12:13], s[6:7]
	s_mov_b32 s4, s13
	s_mul_u64 s[22:23], s[20:21], 3
	s_mul_u64 s[24:25], s[4:5], 3
	s_mov_b32 s18, s23
	s_mul_u64 s[20:21], s[20:21], s[10:11]
	s_add_nc_u64 s[18:19], s[24:25], s[18:19]
	v_lshrrev_b64 v[54:55], 1, v[38:39]
	s_and_b64 s[24:25], s[18:19], s[8:9]
	s_mov_b32 s23, s5
	s_add_nc_u64 s[20:21], s[20:21], s[24:25]
	s_mov_b32 s27, s5
	s_mov_b32 s22, s19
	;; [unrolled: 1-line block ×3, first 2 shown]
	s_mul_u64 s[20:21], s[4:5], s[10:11]
	s_add_nc_u64 s[18:19], s[22:23], s[26:27]
	v_cmp_gt_u64_e32 vcc_lo, 2, v[38:39]
	s_add_nc_u64 s[18:19], s[20:21], s[18:19]
	v_mov_b64_e32 v[38:39], v[54:55]
	s_lshr_b64 s[18:19], s[18:19], 30
	s_delay_alu instid0(SALU_CYCLE_1)
	s_mul_u64 s[18:19], s[18:19], 0x7fffffff
	s_or_b32 s16, vcc_lo, s16
	s_sub_nc_u64 s[12:13], s[12:13], s[18:19]
	s_and_not1_b32 exec_lo, exec_lo, s16
	s_cbranch_execz .LBB27_808
.LBB27_786:                             ; =>This Inner Loop Header: Depth=1
	s_delay_alu instid0(VALU_DEP_1) | instskip(SKIP_1) | instid1(VALU_DEP_1)
	v_and_b32_e32 v4, 1, v38
	s_mov_b32 s4, exec_lo
	v_cmpx_eq_u32_e32 1, v4
	s_cbranch_execz .LBB27_785
; %bb.787:                              ;   in Loop: Header=BB27_786 Depth=1
	v_mul_u64_e32 v[48:49], s[12:13], v[48:49]
	s_delay_alu instid0(VALU_DEP_1) | instskip(NEXT) | instid1(VALU_DEP_1)
	v_mov_b32_e32 v36, v48
	v_mul_u64_e32 v[54:55], 5, v[36:37]
	s_delay_alu instid0(VALU_DEP_1) | instskip(NEXT) | instid1(VALU_DEP_1)
	v_mov_b32_e32 v36, v55
	v_mad_nc_u64_u32 v[54:55], v49, 5, v[36:37]
	s_delay_alu instid0(VALU_DEP_1) | instskip(NEXT) | instid1(VALU_DEP_1)
	v_dual_mov_b32 v36, v55 :: v_dual_mov_b32 v55, v37
	v_mad_nc_u64_u32 v[54:55], v48, 2, v[54:55]
	s_delay_alu instid0(VALU_DEP_1) | instskip(NEXT) | instid1(VALU_DEP_1)
	v_dual_mov_b32 v54, v55 :: v_dual_mov_b32 v55, v37
	v_add_nc_u64_e32 v[54:55], v[36:37], v[54:55]
	s_delay_alu instid0(VALU_DEP_1) | instskip(NEXT) | instid1(VALU_DEP_1)
	v_mad_nc_u64_u32 v[54:55], v49, 2, v[54:55]
	v_sub_nc_u64_e32 v[64:65], v[48:49], v[54:55]
	s_delay_alu instid0(VALU_DEP_1) | instskip(NEXT) | instid1(VALU_DEP_1)
	v_lshrrev_b64 v[64:65], 1, v[64:65]
	v_add_nc_u64_e32 v[54:55], v[64:65], v[54:55]
	s_delay_alu instid0(VALU_DEP_1) | instskip(NEXT) | instid1(VALU_DEP_1)
	v_lshrrev_b64 v[54:55], 30, v[54:55]
	v_mul_u64_e32 v[54:55], 0x7fffffff, v[54:55]
	s_delay_alu instid0(VALU_DEP_1)
	v_sub_nc_u64_e32 v[48:49], v[48:49], v[54:55]
	s_branch .LBB27_785
.LBB27_788:
	s_or_b32 exec_lo, exec_lo, s18
	v_add_min_u32_e64 v6, 0x80000001, v18, v18
	s_delay_alu instid0(VALU_DEP_1)
	v_add_min_u32_e64 v15, 0x80000001, v6, v6
.LBB27_789:
	s_or_b32 exec_lo, exec_lo, s17
	v_mov_b32_e32 v6, 0
	s_movk_i32 s7, 0x1388
	s_brev_b32 s6, 12
.LBB27_790:                             ; =>This Inner Loop Header: Depth=1
	v_mul_hi_u32 v14, 0xbc8f1391, v15
	s_delay_alu instid0(VALU_DEP_2) | instskip(NEXT) | instid1(VALU_DEP_2)
	v_add_f32_e32 v23, 1.0, v6
	v_lshrrev_b32_e32 v14, 15, v14
	s_delay_alu instid0(VALU_DEP_1) | instskip(NEXT) | instid1(VALU_DEP_1)
	v_mul_u32_u24_e32 v16, 0xadc8, v14
	v_sub_nc_u32_e32 v15, v15, v16
	v_mul_u32_u24_e32 v14, 0xd47, v14
	s_delay_alu instid0(VALU_DEP_2) | instskip(NEXT) | instid1(VALU_DEP_2)
	v_mul_lo_u32 v15, 0xbc8f, v15
	v_xor_b32_e32 v16, 0x7fffffff, v14
	v_sub_nc_u32_e32 v17, 0, v14
	s_delay_alu instid0(VALU_DEP_3) | instskip(NEXT) | instid1(VALU_DEP_2)
	v_cmp_lt_u32_e32 vcc_lo, v15, v14
	v_cndmask_b32_e32 v14, v17, v16, vcc_lo
	s_delay_alu instid0(VALU_DEP_1) | instskip(NEXT) | instid1(VALU_DEP_1)
	v_add_nc_u32_e32 v14, v14, v15
	v_mul_hi_u32 v15, 0xbc8f1391, v14
	s_delay_alu instid0(VALU_DEP_1) | instskip(NEXT) | instid1(VALU_DEP_1)
	v_lshrrev_b32_e32 v15, 15, v15
	v_mul_u32_u24_e32 v16, 0xadc8, v15
	v_mul_u32_u24_e32 v15, 0xd47, v15
	s_delay_alu instid0(VALU_DEP_1) | instskip(SKIP_1) | instid1(VALU_DEP_2)
	v_dual_sub_nc_u32 v16, v14, v16 :: v_dual_sub_nc_u32 v18, 0, v15
	v_xor_b32_e32 v17, 0x7fffffff, v15
	v_mul_lo_u32 v16, 0xbc8f, v16
	s_delay_alu instid0(VALU_DEP_1) | instskip(NEXT) | instid1(VALU_DEP_3)
	v_cmp_lt_u32_e32 vcc_lo, v16, v15
	v_cndmask_b32_e32 v15, v18, v17, vcc_lo
	s_delay_alu instid0(VALU_DEP_1) | instskip(NEXT) | instid1(VALU_DEP_1)
	v_add_nc_u32_e32 v15, v15, v16
	v_mul_hi_u32 v16, 0xbc8f1391, v15
	s_delay_alu instid0(VALU_DEP_1) | instskip(NEXT) | instid1(VALU_DEP_1)
	v_lshrrev_b32_e32 v16, 15, v16
	v_mul_u32_u24_e32 v17, 0xadc8, v16
	v_mul_u32_u24_e32 v16, 0xd47, v16
	s_delay_alu instid0(VALU_DEP_1) | instskip(SKIP_1) | instid1(VALU_DEP_2)
	v_dual_sub_nc_u32 v19, 0, v16 :: v_dual_sub_nc_u32 v17, v15, v17
	v_xor_b32_e32 v18, 0x7fffffff, v16
	v_mul_lo_u32 v17, 0xbc8f, v17
	s_delay_alu instid0(VALU_DEP_1) | instskip(NEXT) | instid1(VALU_DEP_3)
	v_cmp_lt_u32_e32 vcc_lo, v17, v16
	v_cndmask_b32_e32 v16, v19, v18, vcc_lo
	s_delay_alu instid0(VALU_DEP_1) | instskip(NEXT) | instid1(VALU_DEP_1)
	v_add_nc_u32_e32 v18, v16, v17
	v_mul_hi_u32 v16, 0xbc8f1391, v18
	s_delay_alu instid0(VALU_DEP_1) | instskip(NEXT) | instid1(VALU_DEP_1)
	v_lshrrev_b32_e32 v16, 15, v16
	v_mul_u32_u24_e32 v17, 0xadc8, v16
	s_delay_alu instid0(VALU_DEP_1) | instskip(NEXT) | instid1(VALU_DEP_1)
	v_sub_nc_u32_e32 v17, v18, v17
	v_mul_lo_u32 v19, 0xbc8f, v17
	v_mul_u32_u24_e32 v17, 0xd47, v16
	s_delay_alu instid0(VALU_DEP_1) | instskip(NEXT) | instid1(VALU_DEP_1)
	v_dual_add_nc_u32 v14, -1, v14 :: v_dual_sub_nc_u32 v24, 0, v17
	v_cvt_f32_u32_e32 v16, v14
	v_xor_b32_e32 v14, 0x7fffffff, v17
	v_cmp_lt_u32_e32 vcc_lo, v19, v17
	s_delay_alu instid0(VALU_DEP_2) | instskip(NEXT) | instid1(VALU_DEP_1)
	v_dual_cndmask_b32 v14, v24, v14 :: v_dual_add_nc_u32 v15, -1, v15
	v_cvt_f32_u32_e32 v17, v15
	s_delay_alu instid0(VALU_DEP_2) | instskip(NEXT) | instid1(VALU_DEP_2)
	v_dual_add_nc_u32 v15, v14, v19 :: v_dual_add_nc_u32 v14, -1, v18
	v_pk_fma_f32 v[16:17], v[16:17], s[6:7], 0 op_sel_hi:[1,0,0]
	s_delay_alu instid0(VALU_DEP_2) | instskip(NEXT) | instid1(VALU_DEP_2)
	v_cvt_f32_u32_e32 v18, v14
	v_pk_mul_f32 v[16:17], v[16:17], v[16:17]
	s_delay_alu instid0(VALU_DEP_1) | instskip(NEXT) | instid1(VALU_DEP_1)
	v_dual_add_f32 v14, v16, v17 :: v_dual_add_nc_u32 v19, -1, v15
	v_cvt_f32_u32_e32 v19, v19
	s_delay_alu instid0(VALU_DEP_2) | instskip(NEXT) | instid1(VALU_DEP_2)
	v_cmp_gt_f32_e32 vcc_lo, 0xf800000, v14
	v_pk_fma_f32 v[16:17], v[18:19], s[6:7], 0 op_sel_hi:[1,0,0]
	v_mul_f32_e32 v18, 0x4f800000, v14
	s_add_co_i32 s7, s7, -2
	s_delay_alu instid0(SALU_CYCLE_1) | instskip(NEXT) | instid1(VALU_DEP_2)
	s_cmp_lg_u32 s7, 0
	v_pk_mul_f32 v[16:17], v[16:17], v[16:17]
	s_delay_alu instid0(VALU_DEP_1) | instskip(NEXT) | instid1(VALU_DEP_1)
	v_dual_cndmask_b32 v14, v14, v18, vcc_lo :: v_dual_add_f32 v16, v16, v17
	v_sqrt_f32_e32 v17, v14
	s_delay_alu instid0(VALU_DEP_1)
	v_mul_f32_e32 v18, 0x4f800000, v16
	v_cmp_gt_f32_e64 s4, 0xf800000, v16
	s_delay_alu instid0(TRANS32_DEP_1) | instid1(VALU_DEP_1)
	v_dual_add_nc_u32 v19, -1, v17 :: v_dual_cndmask_b32 v16, v16, v18, s4
	s_delay_alu instid0(VALU_DEP_1) | instskip(NEXT) | instid1(VALU_DEP_2)
	v_dual_add_nc_u32 v18, 1, v17 :: v_dual_fma_f32 v24, -v19, v17, v14
	v_sqrt_f32_e32 v25, v16
	s_delay_alu instid0(VALU_DEP_1) | instskip(NEXT) | instid1(VALU_DEP_2)
	v_fma_f32 v26, -v18, v17, v14
	v_cmp_ge_f32_e64 s5, 0, v24
	s_delay_alu instid0(VALU_DEP_1) | instskip(NEXT) | instid1(VALU_DEP_3)
	v_cndmask_b32_e64 v17, v17, v19, s5
	v_cmp_lt_f32_e64 s5, 0, v26
	s_delay_alu instid0(TRANS32_DEP_1) | instid1(VALU_DEP_1)
	v_dual_add_nc_u32 v19, -1, v25 :: v_dual_cndmask_b32 v17, v17, v18, s5
	s_delay_alu instid0(VALU_DEP_1) | instskip(NEXT) | instid1(VALU_DEP_1)
	v_dual_fma_f32 v24, -v19, v25, v16 :: v_dual_add_nc_u32 v18, 1, v25
	v_cmp_ge_f32_e64 s5, 0, v24
	s_delay_alu instid0(VALU_DEP_1) | instskip(NEXT) | instid1(VALU_DEP_1)
	v_dual_fma_f32 v27, -v18, v25, v16 :: v_dual_cndmask_b32 v19, v25, v19, s5
	v_cmp_lt_f32_e64 s5, 0, v27
	s_delay_alu instid0(VALU_DEP_1) | instskip(SKIP_1) | instid1(VALU_DEP_1)
	v_cndmask_b32_e64 v18, v19, v18, s5
	v_mul_f32_e32 v26, 0x37800000, v17
	v_cndmask_b32_e32 v17, v17, v26, vcc_lo
	v_cmp_class_f32_e64 vcc_lo, v14, 0x260
	s_delay_alu instid0(VALU_DEP_2) | instskip(SKIP_1) | instid1(VALU_DEP_2)
	v_cndmask_b32_e32 v14, v17, v14, vcc_lo
	v_mul_f32_e32 v17, 0x37800000, v18
	v_cmp_nge_f32_e32 vcc_lo, 1.0, v14
	s_delay_alu instid0(VALU_DEP_2) | instskip(SKIP_1) | instid1(VALU_DEP_2)
	v_dual_cndmask_b32 v14, v18, v17, s4 :: v_dual_cndmask_b32 v6, v23, v6, vcc_lo
	v_cmp_class_f32_e64 vcc_lo, v16, 0x260
	v_dual_add_f32 v17, 1.0, v6 :: v_dual_cndmask_b32 v14, v14, v16
	s_delay_alu instid0(VALU_DEP_1) | instskip(NEXT) | instid1(VALU_DEP_2)
	v_cmp_nge_f32_e32 vcc_lo, 1.0, v14
	v_cndmask_b32_e32 v6, v17, v6, vcc_lo
	s_cbranch_scc1 .LBB27_790
; %bb.791:
	s_delay_alu instid0(VALU_DEP_1) | instskip(NEXT) | instid1(VALU_DEP_1)
	v_mul_f32_e32 v6, 4.0, v6
	v_div_scale_f32 v14, null, 0x459c4000, 0x459c4000, v6
	s_delay_alu instid0(VALU_DEP_1) | instskip(SKIP_1) | instid1(TRANS32_DEP_1)
	v_rcp_f32_e32 v15, v14
	v_nop
	v_fma_f32 v16, -v14, v15, 1.0
	s_delay_alu instid0(VALU_DEP_1) | instskip(SKIP_1) | instid1(VALU_DEP_1)
	v_fmac_f32_e32 v15, v16, v15
	v_div_scale_f32 v16, vcc_lo, v6, 0x459c4000, v6
	v_mul_f32_e32 v17, v16, v15
	s_delay_alu instid0(VALU_DEP_1) | instskip(NEXT) | instid1(VALU_DEP_1)
	v_fma_f32 v18, -v14, v17, v16
	v_fmac_f32_e32 v17, v18, v15
	s_delay_alu instid0(VALU_DEP_1) | instskip(NEXT) | instid1(VALU_DEP_1)
	v_fma_f32 v14, -v14, v17, v16
	v_div_fmas_f32 v14, v14, v15, v17
	s_delay_alu instid0(VALU_DEP_1)
	v_div_fixup_f32 v6, v14, 0x459c4000, v6
.LBB27_792:
	s_or_b32 exec_lo, exec_lo, s16
	v_add_nc_u32_e32 v14, 0x500, v50
	s_delay_alu instid0(VALU_DEP_1)
	v_cmp_lt_u32_e64 s4, v14, v21
	s_and_saveexec_b32 s18, s4
	s_cbranch_execz .LBB27_822
; %bb.793:
	v_dual_add_nc_u32 v9, v22, v14 :: v_dual_mov_b32 v15, 1
	s_mov_b32 s7, 0
	s_mov_b32 s5, exec_lo
	s_delay_alu instid0(VALU_DEP_1) | instskip(NEXT) | instid1(VALU_DEP_1)
	v_mul_lo_u32 v14, 0x1388, v9
	v_cmpx_ne_u32_e32 0, v14
	s_cbranch_execz .LBB27_819
; %bb.794:
	v_mov_b32_e32 v15, 0
	v_mov_b64_e32 v[18:19], 1
	s_mov_b64 s[16:17], 0xbc8f
	s_mov_b64 s[8:9], 0xfffffffd
	;; [unrolled: 1-line block ×3, first 2 shown]
	v_mov_b64_e32 v[16:17], v[14:15]
	s_mov_b64 s[14:15], 0x80000001
	s_mov_b32 s19, 0
	s_branch .LBB27_796
.LBB27_795:                             ;   in Loop: Header=BB27_796 Depth=1
	s_or_b32 exec_lo, exec_lo, s6
	s_mul_u64 s[16:17], s[16:17], s[16:17]
	s_mov_b32 s23, s7
	s_and_b64 s[24:25], s[16:17], s[8:9]
	s_mov_b32 s6, s17
	s_mul_u64 s[26:27], s[24:25], 3
	s_mul_u64 s[40:41], s[6:7], 3
	s_mov_b32 s22, s27
	s_mul_u64 s[24:25], s[24:25], s[14:15]
	s_add_nc_u64 s[22:23], s[40:41], s[22:23]
	v_lshrrev_b64 v[24:25], 1, v[16:17]
	s_and_b64 s[40:41], s[22:23], s[12:13]
	s_mov_b32 s27, s7
	s_add_nc_u64 s[24:25], s[24:25], s[40:41]
	s_mov_b32 s43, s7
	s_mov_b32 s26, s23
	;; [unrolled: 1-line block ×3, first 2 shown]
	s_mul_u64 s[24:25], s[6:7], s[14:15]
	s_add_nc_u64 s[22:23], s[26:27], s[42:43]
	v_cmp_gt_u64_e32 vcc_lo, 2, v[16:17]
	s_add_nc_u64 s[22:23], s[24:25], s[22:23]
	v_mov_b64_e32 v[16:17], v[24:25]
	s_lshr_b64 s[22:23], s[22:23], 30
	s_delay_alu instid0(SALU_CYCLE_1)
	s_mul_u64 s[22:23], s[22:23], 0x7fffffff
	s_or_b32 s19, vcc_lo, s19
	s_sub_nc_u64 s[16:17], s[16:17], s[22:23]
	s_and_not1_b32 exec_lo, exec_lo, s19
	s_cbranch_execz .LBB27_818
.LBB27_796:                             ; =>This Inner Loop Header: Depth=1
	s_delay_alu instid0(VALU_DEP_1) | instskip(SKIP_1) | instid1(VALU_DEP_1)
	v_and_b32_e32 v9, 1, v16
	s_mov_b32 s6, exec_lo
	v_cmpx_eq_u32_e32 1, v9
	s_cbranch_execz .LBB27_795
; %bb.797:                              ;   in Loop: Header=BB27_796 Depth=1
	v_mul_u64_e32 v[18:19], s[16:17], v[18:19]
	s_delay_alu instid0(VALU_DEP_1) | instskip(NEXT) | instid1(VALU_DEP_1)
	v_mov_b32_e32 v14, v18
	v_mul_u64_e32 v[24:25], 5, v[14:15]
	s_delay_alu instid0(VALU_DEP_1) | instskip(NEXT) | instid1(VALU_DEP_1)
	v_mov_b32_e32 v14, v25
	v_mad_nc_u64_u32 v[24:25], v19, 5, v[14:15]
	s_delay_alu instid0(VALU_DEP_1) | instskip(NEXT) | instid1(VALU_DEP_1)
	v_dual_mov_b32 v14, v25 :: v_dual_mov_b32 v25, v15
	v_mad_nc_u64_u32 v[24:25], v18, 2, v[24:25]
	s_delay_alu instid0(VALU_DEP_1) | instskip(NEXT) | instid1(VALU_DEP_1)
	v_dual_mov_b32 v24, v25 :: v_dual_mov_b32 v25, v15
	v_add_nc_u64_e32 v[24:25], v[14:15], v[24:25]
	s_delay_alu instid0(VALU_DEP_1) | instskip(NEXT) | instid1(VALU_DEP_1)
	v_mad_nc_u64_u32 v[24:25], v19, 2, v[24:25]
	v_sub_nc_u64_e32 v[26:27], v[18:19], v[24:25]
	s_delay_alu instid0(VALU_DEP_1) | instskip(NEXT) | instid1(VALU_DEP_1)
	v_lshrrev_b64 v[26:27], 1, v[26:27]
	v_add_nc_u64_e32 v[24:25], v[26:27], v[24:25]
	s_delay_alu instid0(VALU_DEP_1) | instskip(NEXT) | instid1(VALU_DEP_1)
	v_lshrrev_b64 v[24:25], 30, v[24:25]
	v_mul_u64_e32 v[24:25], 0x7fffffff, v[24:25]
	s_delay_alu instid0(VALU_DEP_1)
	v_sub_nc_u64_e32 v[18:19], v[18:19], v[24:25]
	s_branch .LBB27_795
.LBB27_798:
	s_or_b32 exec_lo, exec_lo, s16
	v_add_min_u32_e64 v6, 0x80000001, v26, v26
	s_delay_alu instid0(VALU_DEP_1)
	v_add_min_u32_e64 v23, 0x80000001, v6, v6
.LBB27_799:
	s_or_b32 exec_lo, exec_lo, s15
	v_mov_b32_e32 v6, 0
	s_movk_i32 s7, 0x1388
	s_brev_b32 s6, 12
.LBB27_800:                             ; =>This Inner Loop Header: Depth=1
	v_mul_hi_u32 v22, 0xbc8f1391, v23
	s_delay_alu instid0(VALU_DEP_2) | instskip(NEXT) | instid1(VALU_DEP_2)
	v_add_f32_e32 v31, 1.0, v6
	v_lshrrev_b32_e32 v22, 15, v22
	s_delay_alu instid0(VALU_DEP_1) | instskip(NEXT) | instid1(VALU_DEP_1)
	v_mul_u32_u24_e32 v24, 0xadc8, v22
	v_sub_nc_u32_e32 v23, v23, v24
	v_mul_u32_u24_e32 v22, 0xd47, v22
	s_delay_alu instid0(VALU_DEP_2) | instskip(NEXT) | instid1(VALU_DEP_2)
	v_mul_lo_u32 v23, 0xbc8f, v23
	v_xor_b32_e32 v24, 0x7fffffff, v22
	v_sub_nc_u32_e32 v25, 0, v22
	s_delay_alu instid0(VALU_DEP_3) | instskip(NEXT) | instid1(VALU_DEP_2)
	v_cmp_lt_u32_e32 vcc_lo, v23, v22
	v_cndmask_b32_e32 v22, v25, v24, vcc_lo
	s_delay_alu instid0(VALU_DEP_1) | instskip(NEXT) | instid1(VALU_DEP_1)
	v_add_nc_u32_e32 v22, v22, v23
	v_mul_hi_u32 v23, 0xbc8f1391, v22
	s_delay_alu instid0(VALU_DEP_1) | instskip(NEXT) | instid1(VALU_DEP_1)
	v_lshrrev_b32_e32 v23, 15, v23
	v_mul_u32_u24_e32 v24, 0xadc8, v23
	v_mul_u32_u24_e32 v23, 0xd47, v23
	s_delay_alu instid0(VALU_DEP_1) | instskip(SKIP_1) | instid1(VALU_DEP_2)
	v_dual_sub_nc_u32 v24, v22, v24 :: v_dual_sub_nc_u32 v26, 0, v23
	v_xor_b32_e32 v25, 0x7fffffff, v23
	v_mul_lo_u32 v24, 0xbc8f, v24
	s_delay_alu instid0(VALU_DEP_1) | instskip(NEXT) | instid1(VALU_DEP_3)
	v_cmp_lt_u32_e32 vcc_lo, v24, v23
	v_cndmask_b32_e32 v23, v26, v25, vcc_lo
	s_delay_alu instid0(VALU_DEP_1) | instskip(NEXT) | instid1(VALU_DEP_1)
	v_add_nc_u32_e32 v23, v23, v24
	v_mul_hi_u32 v24, 0xbc8f1391, v23
	s_delay_alu instid0(VALU_DEP_1) | instskip(NEXT) | instid1(VALU_DEP_1)
	v_lshrrev_b32_e32 v24, 15, v24
	v_mul_u32_u24_e32 v25, 0xadc8, v24
	v_mul_u32_u24_e32 v24, 0xd47, v24
	s_delay_alu instid0(VALU_DEP_1) | instskip(SKIP_1) | instid1(VALU_DEP_2)
	v_dual_sub_nc_u32 v27, 0, v24 :: v_dual_sub_nc_u32 v25, v23, v25
	v_xor_b32_e32 v26, 0x7fffffff, v24
	v_mul_lo_u32 v25, 0xbc8f, v25
	s_delay_alu instid0(VALU_DEP_1) | instskip(NEXT) | instid1(VALU_DEP_3)
	v_cmp_lt_u32_e32 vcc_lo, v25, v24
	v_cndmask_b32_e32 v24, v27, v26, vcc_lo
	s_delay_alu instid0(VALU_DEP_1) | instskip(NEXT) | instid1(VALU_DEP_1)
	v_add_nc_u32_e32 v26, v24, v25
	v_mul_hi_u32 v24, 0xbc8f1391, v26
	s_delay_alu instid0(VALU_DEP_1) | instskip(NEXT) | instid1(VALU_DEP_1)
	v_lshrrev_b32_e32 v24, 15, v24
	v_mul_u32_u24_e32 v25, 0xadc8, v24
	s_delay_alu instid0(VALU_DEP_1) | instskip(NEXT) | instid1(VALU_DEP_1)
	v_sub_nc_u32_e32 v25, v26, v25
	v_mul_lo_u32 v27, 0xbc8f, v25
	v_mul_u32_u24_e32 v25, 0xd47, v24
	s_delay_alu instid0(VALU_DEP_1) | instskip(NEXT) | instid1(VALU_DEP_1)
	v_dual_add_nc_u32 v22, -1, v22 :: v_dual_sub_nc_u32 v32, 0, v25
	v_cvt_f32_u32_e32 v24, v22
	v_xor_b32_e32 v22, 0x7fffffff, v25
	v_cmp_lt_u32_e32 vcc_lo, v27, v25
	s_delay_alu instid0(VALU_DEP_2) | instskip(NEXT) | instid1(VALU_DEP_1)
	v_dual_cndmask_b32 v22, v32, v22 :: v_dual_add_nc_u32 v23, -1, v23
	v_cvt_f32_u32_e32 v25, v23
	s_delay_alu instid0(VALU_DEP_2) | instskip(NEXT) | instid1(VALU_DEP_2)
	v_dual_add_nc_u32 v23, v22, v27 :: v_dual_add_nc_u32 v22, -1, v26
	v_pk_fma_f32 v[24:25], v[24:25], s[6:7], 0 op_sel_hi:[1,0,0]
	s_delay_alu instid0(VALU_DEP_2) | instskip(NEXT) | instid1(VALU_DEP_2)
	v_cvt_f32_u32_e32 v26, v22
	v_pk_mul_f32 v[24:25], v[24:25], v[24:25]
	s_delay_alu instid0(VALU_DEP_1) | instskip(NEXT) | instid1(VALU_DEP_1)
	v_dual_add_f32 v22, v24, v25 :: v_dual_add_nc_u32 v27, -1, v23
	v_cvt_f32_u32_e32 v27, v27
	s_delay_alu instid0(VALU_DEP_2) | instskip(NEXT) | instid1(VALU_DEP_2)
	v_cmp_gt_f32_e32 vcc_lo, 0xf800000, v22
	v_pk_fma_f32 v[24:25], v[26:27], s[6:7], 0 op_sel_hi:[1,0,0]
	v_mul_f32_e32 v26, 0x4f800000, v22
	s_add_co_i32 s7, s7, -2
	s_delay_alu instid0(SALU_CYCLE_1) | instskip(NEXT) | instid1(VALU_DEP_2)
	s_cmp_lg_u32 s7, 0
	v_pk_mul_f32 v[24:25], v[24:25], v[24:25]
	s_delay_alu instid0(VALU_DEP_1) | instskip(NEXT) | instid1(VALU_DEP_1)
	v_dual_cndmask_b32 v22, v22, v26, vcc_lo :: v_dual_add_f32 v24, v24, v25
	v_sqrt_f32_e32 v25, v22
	s_delay_alu instid0(VALU_DEP_1)
	v_mul_f32_e32 v26, 0x4f800000, v24
	v_cmp_gt_f32_e64 s4, 0xf800000, v24
	s_delay_alu instid0(TRANS32_DEP_1) | instid1(VALU_DEP_1)
	v_dual_add_nc_u32 v27, -1, v25 :: v_dual_cndmask_b32 v24, v24, v26, s4
	s_delay_alu instid0(VALU_DEP_1) | instskip(NEXT) | instid1(VALU_DEP_2)
	v_dual_add_nc_u32 v26, 1, v25 :: v_dual_fma_f32 v32, -v27, v25, v22
	v_sqrt_f32_e32 v33, v24
	s_delay_alu instid0(VALU_DEP_1) | instskip(NEXT) | instid1(VALU_DEP_2)
	v_fma_f32 v34, -v26, v25, v22
	v_cmp_ge_f32_e64 s5, 0, v32
	s_delay_alu instid0(VALU_DEP_1) | instskip(NEXT) | instid1(VALU_DEP_3)
	v_cndmask_b32_e64 v25, v25, v27, s5
	v_cmp_lt_f32_e64 s5, 0, v34
	s_delay_alu instid0(TRANS32_DEP_1) | instid1(VALU_DEP_1)
	v_dual_add_nc_u32 v27, -1, v33 :: v_dual_cndmask_b32 v25, v25, v26, s5
	s_delay_alu instid0(VALU_DEP_1) | instskip(NEXT) | instid1(VALU_DEP_1)
	v_dual_fma_f32 v32, -v27, v33, v24 :: v_dual_add_nc_u32 v26, 1, v33
	v_cmp_ge_f32_e64 s5, 0, v32
	s_delay_alu instid0(VALU_DEP_1) | instskip(NEXT) | instid1(VALU_DEP_1)
	v_dual_fma_f32 v35, -v26, v33, v24 :: v_dual_cndmask_b32 v27, v33, v27, s5
	v_cmp_lt_f32_e64 s5, 0, v35
	s_delay_alu instid0(VALU_DEP_1) | instskip(SKIP_1) | instid1(VALU_DEP_1)
	v_cndmask_b32_e64 v26, v27, v26, s5
	v_mul_f32_e32 v34, 0x37800000, v25
	v_cndmask_b32_e32 v25, v25, v34, vcc_lo
	v_cmp_class_f32_e64 vcc_lo, v22, 0x260
	s_delay_alu instid0(VALU_DEP_2) | instskip(SKIP_1) | instid1(VALU_DEP_2)
	v_cndmask_b32_e32 v22, v25, v22, vcc_lo
	v_mul_f32_e32 v25, 0x37800000, v26
	v_cmp_nge_f32_e32 vcc_lo, 1.0, v22
	s_delay_alu instid0(VALU_DEP_2) | instskip(SKIP_1) | instid1(VALU_DEP_2)
	v_dual_cndmask_b32 v22, v26, v25, s4 :: v_dual_cndmask_b32 v6, v31, v6, vcc_lo
	v_cmp_class_f32_e64 vcc_lo, v24, 0x260
	v_dual_add_f32 v25, 1.0, v6 :: v_dual_cndmask_b32 v22, v22, v24
	s_delay_alu instid0(VALU_DEP_1) | instskip(NEXT) | instid1(VALU_DEP_2)
	v_cmp_nge_f32_e32 vcc_lo, 1.0, v22
	v_cndmask_b32_e32 v6, v25, v6, vcc_lo
	s_cbranch_scc1 .LBB27_800
; %bb.801:
	s_delay_alu instid0(VALU_DEP_1) | instskip(NEXT) | instid1(VALU_DEP_1)
	v_mul_f32_e32 v6, 4.0, v6
	v_div_scale_f32 v22, null, 0x459c4000, 0x459c4000, v6
	s_delay_alu instid0(VALU_DEP_1) | instskip(SKIP_1) | instid1(TRANS32_DEP_1)
	v_rcp_f32_e32 v23, v22
	v_nop
	v_fma_f32 v24, -v22, v23, 1.0
	s_delay_alu instid0(VALU_DEP_1) | instskip(SKIP_1) | instid1(VALU_DEP_1)
	v_fmac_f32_e32 v23, v24, v23
	v_div_scale_f32 v24, vcc_lo, v6, 0x459c4000, v6
	v_mul_f32_e32 v25, v24, v23
	s_delay_alu instid0(VALU_DEP_1) | instskip(NEXT) | instid1(VALU_DEP_1)
	v_fma_f32 v26, -v22, v25, v24
	v_fmac_f32_e32 v25, v26, v23
	s_delay_alu instid0(VALU_DEP_1) | instskip(NEXT) | instid1(VALU_DEP_1)
	v_fma_f32 v22, -v22, v25, v24
	v_div_fmas_f32 v22, v22, v23, v25
	s_delay_alu instid0(VALU_DEP_1)
	v_div_fixup_f32 v6, v22, 0x459c4000, v6
.LBB27_802:
	s_or_b32 exec_lo, exec_lo, s14
	v_add_nc_u32_e32 v22, 0x500, v50
	s_delay_alu instid0(VALU_DEP_1)
	v_cmp_lt_u32_e64 s4, v22, v29
	s_and_saveexec_b32 s16, s4
	s_cbranch_execz .LBB27_832
; %bb.803:
	v_dual_add_nc_u32 v7, v30, v22 :: v_dual_mov_b32 v23, 1
	s_mov_b32 s7, 0
	s_mov_b32 s5, exec_lo
	s_delay_alu instid0(VALU_DEP_1) | instskip(NEXT) | instid1(VALU_DEP_1)
	v_mul_lo_u32 v22, 0x1388, v7
	v_cmpx_ne_u32_e32 0, v22
	s_cbranch_execz .LBB27_829
; %bb.804:
	v_mov_b32_e32 v23, 0
	v_mov_b64_e32 v[26:27], 1
	s_mov_b64 s[14:15], 0xbc8f
	s_mov_b64 s[8:9], 0xfffffffd
	;; [unrolled: 1-line block ×3, first 2 shown]
	v_mov_b64_e32 v[24:25], v[22:23]
	s_mov_b64 s[12:13], 0x80000001
	s_mov_b32 s17, 0
	s_branch .LBB27_806
.LBB27_805:                             ;   in Loop: Header=BB27_806 Depth=1
	s_or_b32 exec_lo, exec_lo, s6
	s_mul_u64 s[14:15], s[14:15], s[14:15]
	s_mov_b32 s21, s7
	s_and_b64 s[22:23], s[14:15], s[8:9]
	s_mov_b32 s6, s15
	s_mul_u64 s[24:25], s[22:23], 3
	s_mul_u64 s[26:27], s[6:7], 3
	s_mov_b32 s20, s25
	s_mul_u64 s[22:23], s[22:23], s[12:13]
	s_add_nc_u64 s[20:21], s[26:27], s[20:21]
	v_lshrrev_b64 v[32:33], 1, v[24:25]
	s_and_b64 s[26:27], s[20:21], s[10:11]
	s_mov_b32 s25, s7
	s_add_nc_u64 s[22:23], s[22:23], s[26:27]
	s_mov_b32 s43, s7
	s_mov_b32 s24, s21
	;; [unrolled: 1-line block ×3, first 2 shown]
	s_mul_u64 s[22:23], s[6:7], s[12:13]
	s_add_nc_u64 s[20:21], s[24:25], s[42:43]
	v_cmp_gt_u64_e32 vcc_lo, 2, v[24:25]
	s_add_nc_u64 s[20:21], s[22:23], s[20:21]
	v_mov_b64_e32 v[24:25], v[32:33]
	s_lshr_b64 s[20:21], s[20:21], 30
	s_delay_alu instid0(SALU_CYCLE_1)
	s_mul_u64 s[20:21], s[20:21], 0x7fffffff
	s_or_b32 s17, vcc_lo, s17
	s_sub_nc_u64 s[14:15], s[14:15], s[20:21]
	s_and_not1_b32 exec_lo, exec_lo, s17
	s_cbranch_execz .LBB27_828
.LBB27_806:                             ; =>This Inner Loop Header: Depth=1
	s_delay_alu instid0(VALU_DEP_1) | instskip(SKIP_1) | instid1(VALU_DEP_1)
	v_and_b32_e32 v7, 1, v24
	s_mov_b32 s6, exec_lo
	v_cmpx_eq_u32_e32 1, v7
	s_cbranch_execz .LBB27_805
; %bb.807:                              ;   in Loop: Header=BB27_806 Depth=1
	v_mul_u64_e32 v[26:27], s[14:15], v[26:27]
	s_delay_alu instid0(VALU_DEP_1) | instskip(NEXT) | instid1(VALU_DEP_1)
	v_mov_b32_e32 v22, v26
	v_mul_u64_e32 v[32:33], 5, v[22:23]
	s_delay_alu instid0(VALU_DEP_1) | instskip(NEXT) | instid1(VALU_DEP_1)
	v_mov_b32_e32 v22, v33
	v_mad_nc_u64_u32 v[32:33], v27, 5, v[22:23]
	s_delay_alu instid0(VALU_DEP_1) | instskip(NEXT) | instid1(VALU_DEP_1)
	v_dual_mov_b32 v22, v33 :: v_dual_mov_b32 v33, v23
	v_mad_nc_u64_u32 v[32:33], v26, 2, v[32:33]
	s_delay_alu instid0(VALU_DEP_1) | instskip(NEXT) | instid1(VALU_DEP_1)
	v_dual_mov_b32 v32, v33 :: v_dual_mov_b32 v33, v23
	v_add_nc_u64_e32 v[32:33], v[22:23], v[32:33]
	s_delay_alu instid0(VALU_DEP_1) | instskip(NEXT) | instid1(VALU_DEP_1)
	v_mad_nc_u64_u32 v[32:33], v27, 2, v[32:33]
	v_sub_nc_u64_e32 v[34:35], v[26:27], v[32:33]
	s_delay_alu instid0(VALU_DEP_1) | instskip(NEXT) | instid1(VALU_DEP_1)
	v_lshrrev_b64 v[34:35], 1, v[34:35]
	v_add_nc_u64_e32 v[32:33], v[34:35], v[32:33]
	s_delay_alu instid0(VALU_DEP_1) | instskip(NEXT) | instid1(VALU_DEP_1)
	v_lshrrev_b64 v[32:33], 30, v[32:33]
	v_mul_u64_e32 v[32:33], 0x7fffffff, v[32:33]
	s_delay_alu instid0(VALU_DEP_1)
	v_sub_nc_u64_e32 v[26:27], v[26:27], v[32:33]
	s_branch .LBB27_805
.LBB27_808:
	s_or_b32 exec_lo, exec_lo, s16
	v_add_min_u32_e64 v4, 0x80000001, v48, v48
	s_delay_alu instid0(VALU_DEP_1)
	v_add_min_u32_e64 v37, 0x80000001, v4, v4
.LBB27_809:
	s_or_b32 exec_lo, exec_lo, s15
	v_mov_b32_e32 v4, 0
	s_movk_i32 s7, 0x1388
	s_brev_b32 s6, 12
.LBB27_810:                             ; =>This Inner Loop Header: Depth=1
	v_mul_hi_u32 v36, 0xbc8f1391, v37
	s_delay_alu instid0(VALU_DEP_2) | instskip(NEXT) | instid1(VALU_DEP_2)
	v_add_f32_e32 v54, 1.0, v4
	v_lshrrev_b32_e32 v36, 15, v36
	s_delay_alu instid0(VALU_DEP_1) | instskip(NEXT) | instid1(VALU_DEP_1)
	v_mul_u32_u24_e32 v38, 0xadc8, v36
	v_sub_nc_u32_e32 v37, v37, v38
	v_mul_u32_u24_e32 v36, 0xd47, v36
	s_delay_alu instid0(VALU_DEP_2) | instskip(NEXT) | instid1(VALU_DEP_2)
	v_mul_lo_u32 v37, 0xbc8f, v37
	v_xor_b32_e32 v38, 0x7fffffff, v36
	v_sub_nc_u32_e32 v39, 0, v36
	s_delay_alu instid0(VALU_DEP_3) | instskip(NEXT) | instid1(VALU_DEP_2)
	v_cmp_lt_u32_e32 vcc_lo, v37, v36
	v_cndmask_b32_e32 v36, v39, v38, vcc_lo
	s_delay_alu instid0(VALU_DEP_1) | instskip(NEXT) | instid1(VALU_DEP_1)
	v_add_nc_u32_e32 v36, v36, v37
	v_mul_hi_u32 v37, 0xbc8f1391, v36
	s_delay_alu instid0(VALU_DEP_1) | instskip(NEXT) | instid1(VALU_DEP_1)
	v_lshrrev_b32_e32 v37, 15, v37
	v_mul_u32_u24_e32 v38, 0xadc8, v37
	v_mul_u32_u24_e32 v37, 0xd47, v37
	s_delay_alu instid0(VALU_DEP_1) | instskip(SKIP_1) | instid1(VALU_DEP_2)
	v_dual_sub_nc_u32 v38, v36, v38 :: v_dual_sub_nc_u32 v48, 0, v37
	v_xor_b32_e32 v39, 0x7fffffff, v37
	v_mul_lo_u32 v38, 0xbc8f, v38
	s_delay_alu instid0(VALU_DEP_1) | instskip(NEXT) | instid1(VALU_DEP_3)
	v_cmp_lt_u32_e32 vcc_lo, v38, v37
	v_cndmask_b32_e32 v37, v48, v39, vcc_lo
	s_delay_alu instid0(VALU_DEP_1) | instskip(NEXT) | instid1(VALU_DEP_1)
	v_add_nc_u32_e32 v37, v37, v38
	v_mul_hi_u32 v38, 0xbc8f1391, v37
	s_delay_alu instid0(VALU_DEP_1) | instskip(NEXT) | instid1(VALU_DEP_1)
	v_lshrrev_b32_e32 v38, 15, v38
	v_mul_u32_u24_e32 v39, 0xadc8, v38
	v_mul_u32_u24_e32 v38, 0xd47, v38
	s_delay_alu instid0(VALU_DEP_1) | instskip(SKIP_1) | instid1(VALU_DEP_2)
	v_dual_sub_nc_u32 v49, 0, v38 :: v_dual_sub_nc_u32 v39, v37, v39
	v_xor_b32_e32 v48, 0x7fffffff, v38
	v_mul_lo_u32 v39, 0xbc8f, v39
	s_delay_alu instid0(VALU_DEP_1) | instskip(NEXT) | instid1(VALU_DEP_3)
	v_cmp_lt_u32_e32 vcc_lo, v39, v38
	v_cndmask_b32_e32 v38, v49, v48, vcc_lo
	s_delay_alu instid0(VALU_DEP_1) | instskip(NEXT) | instid1(VALU_DEP_1)
	v_add_nc_u32_e32 v48, v38, v39
	v_mul_hi_u32 v38, 0xbc8f1391, v48
	s_delay_alu instid0(VALU_DEP_1) | instskip(NEXT) | instid1(VALU_DEP_1)
	v_lshrrev_b32_e32 v38, 15, v38
	v_mul_u32_u24_e32 v39, 0xadc8, v38
	s_delay_alu instid0(VALU_DEP_1) | instskip(NEXT) | instid1(VALU_DEP_1)
	v_sub_nc_u32_e32 v39, v48, v39
	v_mul_lo_u32 v49, 0xbc8f, v39
	v_mul_u32_u24_e32 v39, 0xd47, v38
	s_delay_alu instid0(VALU_DEP_1) | instskip(NEXT) | instid1(VALU_DEP_1)
	v_dual_add_nc_u32 v36, -1, v36 :: v_dual_sub_nc_u32 v55, 0, v39
	v_cvt_f32_u32_e32 v38, v36
	v_xor_b32_e32 v36, 0x7fffffff, v39
	v_cmp_lt_u32_e32 vcc_lo, v49, v39
	s_delay_alu instid0(VALU_DEP_2) | instskip(NEXT) | instid1(VALU_DEP_1)
	v_dual_cndmask_b32 v36, v55, v36 :: v_dual_add_nc_u32 v37, -1, v37
	v_cvt_f32_u32_e32 v39, v37
	s_delay_alu instid0(VALU_DEP_2) | instskip(NEXT) | instid1(VALU_DEP_2)
	v_dual_add_nc_u32 v37, v36, v49 :: v_dual_add_nc_u32 v36, -1, v48
	v_pk_fma_f32 v[38:39], v[38:39], s[6:7], 0 op_sel_hi:[1,0,0]
	s_delay_alu instid0(VALU_DEP_2) | instskip(NEXT) | instid1(VALU_DEP_2)
	v_cvt_f32_u32_e32 v48, v36
	v_pk_mul_f32 v[38:39], v[38:39], v[38:39]
	s_delay_alu instid0(VALU_DEP_1) | instskip(NEXT) | instid1(VALU_DEP_1)
	v_dual_add_f32 v36, v38, v39 :: v_dual_add_nc_u32 v49, -1, v37
	v_cvt_f32_u32_e32 v49, v49
	s_delay_alu instid0(VALU_DEP_2) | instskip(NEXT) | instid1(VALU_DEP_2)
	v_cmp_gt_f32_e32 vcc_lo, 0xf800000, v36
	v_pk_fma_f32 v[38:39], v[48:49], s[6:7], 0 op_sel_hi:[1,0,0]
	v_mul_f32_e32 v48, 0x4f800000, v36
	s_add_co_i32 s7, s7, -2
	s_delay_alu instid0(SALU_CYCLE_1) | instskip(NEXT) | instid1(VALU_DEP_2)
	s_cmp_lg_u32 s7, 0
	v_pk_mul_f32 v[38:39], v[38:39], v[38:39]
	s_delay_alu instid0(VALU_DEP_1) | instskip(NEXT) | instid1(VALU_DEP_1)
	v_dual_cndmask_b32 v36, v36, v48, vcc_lo :: v_dual_add_f32 v38, v38, v39
	v_sqrt_f32_e32 v39, v36
	s_delay_alu instid0(VALU_DEP_1)
	v_mul_f32_e32 v48, 0x4f800000, v38
	v_cmp_gt_f32_e64 s4, 0xf800000, v38
	s_delay_alu instid0(TRANS32_DEP_1) | instid1(VALU_DEP_1)
	v_dual_add_nc_u32 v49, -1, v39 :: v_dual_cndmask_b32 v38, v38, v48, s4
	s_delay_alu instid0(VALU_DEP_1) | instskip(NEXT) | instid1(VALU_DEP_2)
	v_dual_add_nc_u32 v48, 1, v39 :: v_dual_fma_f32 v55, -v49, v39, v36
	v_sqrt_f32_e32 v64, v38
	s_delay_alu instid0(VALU_DEP_1) | instskip(NEXT) | instid1(VALU_DEP_2)
	v_fma_f32 v65, -v48, v39, v36
	v_cmp_ge_f32_e64 s5, 0, v55
	s_delay_alu instid0(VALU_DEP_1) | instskip(NEXT) | instid1(VALU_DEP_3)
	v_cndmask_b32_e64 v39, v39, v49, s5
	v_cmp_lt_f32_e64 s5, 0, v65
	s_delay_alu instid0(TRANS32_DEP_1) | instskip(NEXT) | instid1(VALU_DEP_2)
	v_add_nc_u32_e32 v49, -1, v64
	v_cndmask_b32_e64 v39, v39, v48, s5
	s_delay_alu instid0(VALU_DEP_2) | instskip(NEXT) | instid1(VALU_DEP_1)
	v_dual_add_nc_u32 v48, 1, v64 :: v_dual_fma_f32 v55, -v49, v64, v38
	v_fma_f32 v66, -v48, v64, v38
	s_delay_alu instid0(VALU_DEP_2) | instskip(NEXT) | instid1(VALU_DEP_1)
	v_cmp_ge_f32_e64 s5, 0, v55
	v_cndmask_b32_e64 v49, v64, v49, s5
	v_mul_f32_e32 v65, 0x37800000, v39
	s_delay_alu instid0(VALU_DEP_4) | instskip(NEXT) | instid1(VALU_DEP_1)
	v_cmp_lt_f32_e64 s5, 0, v66
	v_dual_cndmask_b32 v39, v39, v65, vcc_lo :: v_dual_cndmask_b32 v48, v49, v48, s5
	v_cmp_class_f32_e64 vcc_lo, v36, 0x260
	s_delay_alu instid0(VALU_DEP_2) | instskip(NEXT) | instid1(VALU_DEP_1)
	v_cndmask_b32_e32 v36, v39, v36, vcc_lo
	v_cmp_nge_f32_e32 vcc_lo, 1.0, v36
	v_cndmask_b32_e32 v4, v54, v4, vcc_lo
	v_cmp_class_f32_e64 vcc_lo, v38, 0x260
	v_mul_f32_e32 v39, 0x37800000, v48
	s_delay_alu instid0(VALU_DEP_1) | instskip(NEXT) | instid1(VALU_DEP_1)
	v_dual_cndmask_b32 v36, v48, v39, s4 :: v_dual_add_f32 v39, 1.0, v4
	v_cndmask_b32_e32 v36, v36, v38, vcc_lo
	s_delay_alu instid0(VALU_DEP_1) | instskip(NEXT) | instid1(VALU_DEP_3)
	v_cmp_nge_f32_e32 vcc_lo, 1.0, v36
	v_cndmask_b32_e32 v4, v39, v4, vcc_lo
	s_cbranch_scc1 .LBB27_810
; %bb.811:
	s_delay_alu instid0(VALU_DEP_1) | instskip(NEXT) | instid1(VALU_DEP_1)
	v_mul_f32_e32 v4, 4.0, v4
	v_div_scale_f32 v36, null, 0x459c4000, 0x459c4000, v4
	s_delay_alu instid0(VALU_DEP_1) | instskip(SKIP_1) | instid1(TRANS32_DEP_1)
	v_rcp_f32_e32 v37, v36
	v_nop
	v_fma_f32 v38, -v36, v37, 1.0
	s_delay_alu instid0(VALU_DEP_1) | instskip(SKIP_1) | instid1(VALU_DEP_1)
	v_fmac_f32_e32 v37, v38, v37
	v_div_scale_f32 v38, vcc_lo, v4, 0x459c4000, v4
	v_mul_f32_e32 v39, v38, v37
	s_delay_alu instid0(VALU_DEP_1) | instskip(NEXT) | instid1(VALU_DEP_1)
	v_fma_f32 v48, -v36, v39, v38
	v_fmac_f32_e32 v39, v48, v37
	s_delay_alu instid0(VALU_DEP_1) | instskip(NEXT) | instid1(VALU_DEP_1)
	v_fma_f32 v36, -v36, v39, v38
	v_div_fmas_f32 v36, v36, v37, v39
	s_delay_alu instid0(VALU_DEP_1)
	v_div_fixup_f32 v4, v36, 0x459c4000, v4
.LBB27_812:
	s_or_b32 exec_lo, exec_lo, s14
	v_add_nc_u32_e32 v36, 0x500, v50
	s_delay_alu instid0(VALU_DEP_1)
	v_cmp_lt_u32_e64 s4, v36, v52
	s_and_saveexec_b32 s16, s4
	s_cbranch_execz .LBB27_842
; %bb.813:
	v_dual_add_nc_u32 v5, v53, v36 :: v_dual_mov_b32 v37, 1
	s_mov_b32 s7, 0
	s_mov_b32 s5, exec_lo
	s_delay_alu instid0(VALU_DEP_1) | instskip(NEXT) | instid1(VALU_DEP_1)
	v_mul_lo_u32 v36, 0x1388, v5
	v_cmpx_ne_u32_e32 0, v36
	s_cbranch_execz .LBB27_839
; %bb.814:
	v_mov_b32_e32 v37, 0
	v_mov_b64_e32 v[48:49], 1
	s_mov_b64 s[14:15], 0xbc8f
	s_mov_b64 s[8:9], 0xfffffffd
	;; [unrolled: 1-line block ×3, first 2 shown]
	v_mov_b64_e32 v[38:39], v[36:37]
	s_mov_b64 s[12:13], 0x80000001
	s_mov_b32 s17, 0
	s_branch .LBB27_816
.LBB27_815:                             ;   in Loop: Header=BB27_816 Depth=1
	s_or_b32 exec_lo, exec_lo, s6
	s_mul_u64 s[14:15], s[14:15], s[14:15]
	s_mov_b32 s19, s7
	s_and_b64 s[20:21], s[14:15], s[8:9]
	s_mov_b32 s6, s15
	s_mul_u64 s[22:23], s[20:21], 3
	s_mul_u64 s[24:25], s[6:7], 3
	s_mov_b32 s18, s23
	s_mul_u64 s[20:21], s[20:21], s[12:13]
	s_add_nc_u64 s[18:19], s[24:25], s[18:19]
	v_lshrrev_b64 v[54:55], 1, v[38:39]
	s_and_b64 s[24:25], s[18:19], s[10:11]
	s_mov_b32 s23, s7
	s_add_nc_u64 s[20:21], s[20:21], s[24:25]
	s_mov_b32 s27, s7
	s_mov_b32 s22, s19
	;; [unrolled: 1-line block ×3, first 2 shown]
	s_mul_u64 s[20:21], s[6:7], s[12:13]
	s_add_nc_u64 s[18:19], s[22:23], s[26:27]
	v_cmp_gt_u64_e32 vcc_lo, 2, v[38:39]
	s_add_nc_u64 s[18:19], s[20:21], s[18:19]
	v_mov_b64_e32 v[38:39], v[54:55]
	s_lshr_b64 s[18:19], s[18:19], 30
	s_delay_alu instid0(SALU_CYCLE_1)
	s_mul_u64 s[18:19], s[18:19], 0x7fffffff
	s_or_b32 s17, vcc_lo, s17
	s_sub_nc_u64 s[14:15], s[14:15], s[18:19]
	s_and_not1_b32 exec_lo, exec_lo, s17
	s_cbranch_execz .LBB27_838
.LBB27_816:                             ; =>This Inner Loop Header: Depth=1
	s_delay_alu instid0(VALU_DEP_1) | instskip(SKIP_1) | instid1(VALU_DEP_1)
	v_and_b32_e32 v5, 1, v38
	s_mov_b32 s6, exec_lo
	v_cmpx_eq_u32_e32 1, v5
	s_cbranch_execz .LBB27_815
; %bb.817:                              ;   in Loop: Header=BB27_816 Depth=1
	v_mul_u64_e32 v[48:49], s[14:15], v[48:49]
	s_delay_alu instid0(VALU_DEP_1) | instskip(NEXT) | instid1(VALU_DEP_1)
	v_mov_b32_e32 v36, v48
	v_mul_u64_e32 v[54:55], 5, v[36:37]
	s_delay_alu instid0(VALU_DEP_1) | instskip(NEXT) | instid1(VALU_DEP_1)
	v_mov_b32_e32 v36, v55
	v_mad_nc_u64_u32 v[54:55], v49, 5, v[36:37]
	s_delay_alu instid0(VALU_DEP_1) | instskip(NEXT) | instid1(VALU_DEP_1)
	v_dual_mov_b32 v36, v55 :: v_dual_mov_b32 v55, v37
	v_mad_nc_u64_u32 v[54:55], v48, 2, v[54:55]
	s_delay_alu instid0(VALU_DEP_1) | instskip(NEXT) | instid1(VALU_DEP_1)
	v_dual_mov_b32 v54, v55 :: v_dual_mov_b32 v55, v37
	v_add_nc_u64_e32 v[54:55], v[36:37], v[54:55]
	s_delay_alu instid0(VALU_DEP_1) | instskip(NEXT) | instid1(VALU_DEP_1)
	v_mad_nc_u64_u32 v[54:55], v49, 2, v[54:55]
	v_sub_nc_u64_e32 v[64:65], v[48:49], v[54:55]
	s_delay_alu instid0(VALU_DEP_1) | instskip(NEXT) | instid1(VALU_DEP_1)
	v_lshrrev_b64 v[64:65], 1, v[64:65]
	v_add_nc_u64_e32 v[54:55], v[64:65], v[54:55]
	s_delay_alu instid0(VALU_DEP_1) | instskip(NEXT) | instid1(VALU_DEP_1)
	v_lshrrev_b64 v[54:55], 30, v[54:55]
	v_mul_u64_e32 v[54:55], 0x7fffffff, v[54:55]
	s_delay_alu instid0(VALU_DEP_1)
	v_sub_nc_u64_e32 v[48:49], v[48:49], v[54:55]
	s_branch .LBB27_815
.LBB27_818:
	s_or_b32 exec_lo, exec_lo, s19
	v_add_min_u32_e64 v9, 0x80000001, v18, v18
	s_delay_alu instid0(VALU_DEP_1)
	v_add_min_u32_e64 v15, 0x80000001, v9, v9
.LBB27_819:
	s_or_b32 exec_lo, exec_lo, s5
	v_mov_b32_e32 v9, 0
	s_movk_i32 s7, 0x1388
	s_brev_b32 s8, 12
.LBB27_820:                             ; =>This Inner Loop Header: Depth=1
	v_mul_hi_u32 v14, 0xbc8f1391, v15
	s_add_co_i32 s7, s7, -2
	s_delay_alu instid0(VALU_DEP_2) | instskip(SKIP_1) | instid1(VALU_DEP_2)
	v_add_f32_e32 v23, 1.0, v9
	s_cmp_lg_u32 s7, 0
	v_lshrrev_b32_e32 v14, 15, v14
	s_delay_alu instid0(VALU_DEP_1) | instskip(NEXT) | instid1(VALU_DEP_1)
	v_mul_u32_u24_e32 v16, 0xadc8, v14
	v_sub_nc_u32_e32 v15, v15, v16
	v_mul_u32_u24_e32 v14, 0xd47, v14
	s_delay_alu instid0(VALU_DEP_2) | instskip(NEXT) | instid1(VALU_DEP_2)
	v_mul_lo_u32 v15, 0xbc8f, v15
	v_xor_b32_e32 v16, 0x7fffffff, v14
	v_sub_nc_u32_e32 v17, 0, v14
	s_delay_alu instid0(VALU_DEP_3) | instskip(NEXT) | instid1(VALU_DEP_2)
	v_cmp_lt_u32_e32 vcc_lo, v15, v14
	v_cndmask_b32_e32 v14, v17, v16, vcc_lo
	s_delay_alu instid0(VALU_DEP_1) | instskip(NEXT) | instid1(VALU_DEP_1)
	v_add_nc_u32_e32 v14, v14, v15
	v_mul_hi_u32 v15, 0xbc8f1391, v14
	s_delay_alu instid0(VALU_DEP_1) | instskip(NEXT) | instid1(VALU_DEP_1)
	v_lshrrev_b32_e32 v15, 15, v15
	v_mul_u32_u24_e32 v16, 0xadc8, v15
	v_mul_u32_u24_e32 v15, 0xd47, v15
	s_delay_alu instid0(VALU_DEP_1) | instskip(SKIP_2) | instid1(VALU_DEP_3)
	v_dual_sub_nc_u32 v16, v14, v16 :: v_dual_sub_nc_u32 v18, 0, v15
	v_xor_b32_e32 v17, 0x7fffffff, v15
	v_add_nc_u32_e32 v14, -1, v14
	v_mul_lo_u32 v16, 0xbc8f, v16
	s_delay_alu instid0(VALU_DEP_1) | instskip(NEXT) | instid1(VALU_DEP_4)
	v_cmp_lt_u32_e32 vcc_lo, v16, v15
	v_cndmask_b32_e32 v15, v18, v17, vcc_lo
	s_delay_alu instid0(VALU_DEP_1) | instskip(NEXT) | instid1(VALU_DEP_1)
	v_add_nc_u32_e32 v15, v15, v16
	v_mul_hi_u32 v16, 0xbc8f1391, v15
	s_delay_alu instid0(VALU_DEP_1) | instskip(NEXT) | instid1(VALU_DEP_1)
	v_lshrrev_b32_e32 v16, 15, v16
	v_mul_u32_u24_e32 v17, 0xadc8, v16
	v_mul_u32_u24_e32 v16, 0xd47, v16
	s_delay_alu instid0(VALU_DEP_1) | instskip(SKIP_2) | instid1(VALU_DEP_3)
	v_dual_sub_nc_u32 v19, 0, v16 :: v_dual_sub_nc_u32 v17, v15, v17
	v_xor_b32_e32 v18, 0x7fffffff, v16
	v_add_nc_u32_e32 v15, -1, v15
	v_mul_lo_u32 v17, 0xbc8f, v17
	s_delay_alu instid0(VALU_DEP_1) | instskip(NEXT) | instid1(VALU_DEP_4)
	v_cmp_lt_u32_e32 vcc_lo, v17, v16
	v_cndmask_b32_e32 v16, v19, v18, vcc_lo
	s_delay_alu instid0(VALU_DEP_1) | instskip(NEXT) | instid1(VALU_DEP_1)
	v_add_nc_u32_e32 v18, v16, v17
	v_mul_hi_u32 v16, 0xbc8f1391, v18
	s_delay_alu instid0(VALU_DEP_1) | instskip(NEXT) | instid1(VALU_DEP_1)
	v_lshrrev_b32_e32 v16, 15, v16
	v_mul_u32_u24_e32 v17, 0xadc8, v16
	s_delay_alu instid0(VALU_DEP_1) | instskip(NEXT) | instid1(VALU_DEP_1)
	v_sub_nc_u32_e32 v17, v18, v17
	v_mul_lo_u32 v19, 0xbc8f, v17
	v_mul_u32_u24_e32 v17, 0xd47, v16
	v_cvt_f32_u32_e32 v16, v14
	s_delay_alu instid0(VALU_DEP_2) | instskip(SKIP_3) | instid1(VALU_DEP_3)
	v_xor_b32_e32 v14, 0x7fffffff, v17
	v_sub_nc_u32_e32 v24, 0, v17
	v_cmp_lt_u32_e32 vcc_lo, v19, v17
	v_cvt_f32_u32_e32 v17, v15
	v_cndmask_b32_e32 v14, v24, v14, vcc_lo
	s_delay_alu instid0(VALU_DEP_2) | instskip(NEXT) | instid1(VALU_DEP_2)
	v_pk_fma_f32 v[16:17], v[16:17], s[8:9], 0 op_sel_hi:[1,0,0]
	v_dual_add_nc_u32 v15, v14, v19 :: v_dual_add_nc_u32 v14, -1, v18
	s_delay_alu instid0(VALU_DEP_2) | instskip(NEXT) | instid1(VALU_DEP_2)
	v_pk_mul_f32 v[16:17], v[16:17], v[16:17]
	v_add_nc_u32_e32 v19, -1, v15
	s_delay_alu instid0(VALU_DEP_3) | instskip(NEXT) | instid1(VALU_DEP_3)
	v_cvt_f32_u32_e32 v18, v14
	v_add_f32_e32 v14, v16, v17
	s_delay_alu instid0(VALU_DEP_3) | instskip(NEXT) | instid1(VALU_DEP_2)
	v_cvt_f32_u32_e32 v19, v19
	v_cmp_gt_f32_e32 vcc_lo, 0xf800000, v14
	s_delay_alu instid0(VALU_DEP_2) | instskip(SKIP_1) | instid1(VALU_DEP_2)
	v_pk_fma_f32 v[16:17], v[18:19], s[8:9], 0 op_sel_hi:[1,0,0]
	v_mul_f32_e32 v18, 0x4f800000, v14
	v_pk_mul_f32 v[16:17], v[16:17], v[16:17]
	s_delay_alu instid0(VALU_DEP_1) | instskip(NEXT) | instid1(VALU_DEP_1)
	v_add_f32_e32 v16, v16, v17
	v_cmp_gt_f32_e64 s5, 0xf800000, v16
	s_delay_alu instid0(VALU_DEP_4) | instskip(SKIP_1) | instid1(VALU_DEP_1)
	v_cndmask_b32_e32 v14, v14, v18, vcc_lo
	v_mul_f32_e32 v18, 0x4f800000, v16
	v_cndmask_b32_e64 v16, v16, v18, s5
	s_delay_alu instid0(VALU_DEP_3) | instskip(NEXT) | instid1(VALU_DEP_1)
	v_sqrt_f32_e32 v17, v14
	v_sqrt_f32_e32 v25, v16
	s_delay_alu instid0(TRANS32_DEP_2) | instskip(NEXT) | instid1(VALU_DEP_1)
	v_dual_add_nc_u32 v19, -1, v17 :: v_dual_add_nc_u32 v18, 1, v17
	v_fma_f32 v24, -v19, v17, v14
	s_delay_alu instid0(VALU_DEP_1) | instskip(NEXT) | instid1(VALU_DEP_1)
	v_cmp_ge_f32_e64 s6, 0, v24
	v_dual_fma_f32 v26, -v18, v17, v14 :: v_dual_cndmask_b32 v17, v17, v19, s6
	s_delay_alu instid0(VALU_DEP_1)
	v_cmp_lt_f32_e64 s6, 0, v26
	s_delay_alu instid0(TRANS32_DEP_1) | instid1(VALU_DEP_1)
	v_dual_add_nc_u32 v19, -1, v25 :: v_dual_cndmask_b32 v17, v17, v18, s6
	s_delay_alu instid0(VALU_DEP_1) | instskip(NEXT) | instid1(VALU_DEP_1)
	v_dual_add_nc_u32 v18, 1, v25 :: v_dual_fma_f32 v24, -v19, v25, v16
	v_fma_f32 v27, -v18, v25, v16
	s_delay_alu instid0(VALU_DEP_2) | instskip(NEXT) | instid1(VALU_DEP_1)
	v_cmp_ge_f32_e64 s6, 0, v24
	v_cndmask_b32_e64 v19, v25, v19, s6
	s_delay_alu instid0(VALU_DEP_3) | instskip(NEXT) | instid1(VALU_DEP_1)
	v_cmp_lt_f32_e64 s6, 0, v27
	v_cndmask_b32_e64 v18, v19, v18, s6
	v_mul_f32_e32 v26, 0x37800000, v17
	s_delay_alu instid0(VALU_DEP_1) | instskip(SKIP_1) | instid1(VALU_DEP_2)
	v_cndmask_b32_e32 v17, v17, v26, vcc_lo
	v_cmp_class_f32_e64 vcc_lo, v14, 0x260
	v_cndmask_b32_e32 v14, v17, v14, vcc_lo
	v_mul_f32_e32 v17, 0x37800000, v18
	s_delay_alu instid0(VALU_DEP_2) | instskip(NEXT) | instid1(VALU_DEP_2)
	v_cmp_nge_f32_e32 vcc_lo, 1.0, v14
	v_cndmask_b32_e64 v14, v18, v17, s5
	v_cndmask_b32_e32 v9, v23, v9, vcc_lo
	v_cmp_class_f32_e64 vcc_lo, v16, 0x260
	s_delay_alu instid0(VALU_DEP_2) | instskip(NEXT) | instid1(VALU_DEP_1)
	v_dual_add_f32 v17, 1.0, v9 :: v_dual_cndmask_b32 v14, v14, v16
	v_cmp_nge_f32_e32 vcc_lo, 1.0, v14
	s_delay_alu instid0(VALU_DEP_2)
	v_cndmask_b32_e32 v9, v17, v9, vcc_lo
	s_cbranch_scc1 .LBB27_820
; %bb.821:
	s_delay_alu instid0(VALU_DEP_1) | instskip(NEXT) | instid1(VALU_DEP_1)
	v_mul_f32_e32 v9, 4.0, v9
	v_div_scale_f32 v14, null, 0x459c4000, 0x459c4000, v9
	s_delay_alu instid0(VALU_DEP_1) | instskip(SKIP_1) | instid1(TRANS32_DEP_1)
	v_rcp_f32_e32 v15, v14
	v_nop
	v_fma_f32 v16, -v14, v15, 1.0
	s_delay_alu instid0(VALU_DEP_1) | instskip(SKIP_1) | instid1(VALU_DEP_1)
	v_fmac_f32_e32 v15, v16, v15
	v_div_scale_f32 v16, vcc_lo, v9, 0x459c4000, v9
	v_mul_f32_e32 v17, v16, v15
	s_delay_alu instid0(VALU_DEP_1) | instskip(NEXT) | instid1(VALU_DEP_1)
	v_fma_f32 v18, -v14, v17, v16
	v_fmac_f32_e32 v17, v18, v15
	s_delay_alu instid0(VALU_DEP_1) | instskip(NEXT) | instid1(VALU_DEP_1)
	v_fma_f32 v14, -v14, v17, v16
	v_div_fmas_f32 v14, v14, v15, v17
	s_delay_alu instid0(VALU_DEP_1)
	v_div_fixup_f32 v9, v14, 0x459c4000, v9
.LBB27_822:
	s_or_b32 exec_lo, exec_lo, s18
	v_add_nc_u32_e32 v14, 0x600, v50
	s_delay_alu instid0(VALU_DEP_1)
	v_cmp_lt_u32_e64 s5, v14, v21
	s_and_saveexec_b32 s18, s5
	s_cbranch_execz .LBB27_852
; %bb.823:
	v_dual_mov_b32 v15, 1 :: v_dual_add_nc_u32 v8, v22, v14
	s_mov_b32 s7, 0
	s_mov_b32 s19, exec_lo
	s_delay_alu instid0(VALU_DEP_1) | instskip(NEXT) | instid1(VALU_DEP_1)
	v_mul_lo_u32 v14, 0x1388, v8
	v_cmpx_ne_u32_e32 0, v14
	s_cbranch_execz .LBB27_849
; %bb.824:
	v_mov_b32_e32 v15, 0
	v_mov_b64_e32 v[18:19], 1
	s_mov_b64 s[16:17], 0xbc8f
	s_mov_b64 s[8:9], 0xfffffffd
	;; [unrolled: 1-line block ×3, first 2 shown]
	v_mov_b64_e32 v[16:17], v[14:15]
	s_mov_b64 s[14:15], 0x80000001
	s_mov_b32 s22, 0
	s_branch .LBB27_826
.LBB27_825:                             ;   in Loop: Header=BB27_826 Depth=1
	s_or_b32 exec_lo, exec_lo, s6
	s_mul_u64 s[16:17], s[16:17], s[16:17]
	s_mov_b32 s25, s7
	s_and_b64 s[26:27], s[16:17], s[8:9]
	s_mov_b32 s6, s17
	s_mul_u64 s[40:41], s[26:27], 3
	s_mul_u64 s[42:43], s[6:7], 3
	s_mov_b32 s24, s41
	s_mul_u64 s[26:27], s[26:27], s[14:15]
	s_add_nc_u64 s[24:25], s[42:43], s[24:25]
	v_lshrrev_b64 v[24:25], 1, v[16:17]
	s_and_b64 s[42:43], s[24:25], s[12:13]
	s_mov_b32 s41, s7
	s_add_nc_u64 s[26:27], s[26:27], s[42:43]
	s_mov_b32 s45, s7
	s_mov_b32 s40, s25
	;; [unrolled: 1-line block ×3, first 2 shown]
	s_mul_u64 s[26:27], s[6:7], s[14:15]
	s_add_nc_u64 s[24:25], s[40:41], s[44:45]
	v_cmp_gt_u64_e32 vcc_lo, 2, v[16:17]
	s_add_nc_u64 s[24:25], s[26:27], s[24:25]
	v_mov_b64_e32 v[16:17], v[24:25]
	s_lshr_b64 s[24:25], s[24:25], 30
	s_delay_alu instid0(SALU_CYCLE_1)
	s_mul_u64 s[24:25], s[24:25], 0x7fffffff
	s_or_b32 s22, vcc_lo, s22
	s_sub_nc_u64 s[16:17], s[16:17], s[24:25]
	s_and_not1_b32 exec_lo, exec_lo, s22
	s_cbranch_execz .LBB27_848
.LBB27_826:                             ; =>This Inner Loop Header: Depth=1
	s_delay_alu instid0(VALU_DEP_1) | instskip(SKIP_1) | instid1(VALU_DEP_1)
	v_and_b32_e32 v8, 1, v16
	s_mov_b32 s6, exec_lo
	v_cmpx_eq_u32_e32 1, v8
	s_cbranch_execz .LBB27_825
; %bb.827:                              ;   in Loop: Header=BB27_826 Depth=1
	v_mul_u64_e32 v[18:19], s[16:17], v[18:19]
	s_delay_alu instid0(VALU_DEP_1) | instskip(NEXT) | instid1(VALU_DEP_1)
	v_mov_b32_e32 v14, v18
	v_mul_u64_e32 v[24:25], 5, v[14:15]
	s_delay_alu instid0(VALU_DEP_1) | instskip(NEXT) | instid1(VALU_DEP_1)
	v_mov_b32_e32 v14, v25
	v_mad_nc_u64_u32 v[24:25], v19, 5, v[14:15]
	s_delay_alu instid0(VALU_DEP_1) | instskip(NEXT) | instid1(VALU_DEP_1)
	v_dual_mov_b32 v14, v25 :: v_dual_mov_b32 v25, v15
	v_mad_nc_u64_u32 v[24:25], v18, 2, v[24:25]
	s_delay_alu instid0(VALU_DEP_1) | instskip(NEXT) | instid1(VALU_DEP_1)
	v_dual_mov_b32 v24, v25 :: v_dual_mov_b32 v25, v15
	v_add_nc_u64_e32 v[24:25], v[14:15], v[24:25]
	s_delay_alu instid0(VALU_DEP_1) | instskip(NEXT) | instid1(VALU_DEP_1)
	v_mad_nc_u64_u32 v[24:25], v19, 2, v[24:25]
	v_sub_nc_u64_e32 v[26:27], v[18:19], v[24:25]
	s_delay_alu instid0(VALU_DEP_1) | instskip(NEXT) | instid1(VALU_DEP_1)
	v_lshrrev_b64 v[26:27], 1, v[26:27]
	v_add_nc_u64_e32 v[24:25], v[26:27], v[24:25]
	s_delay_alu instid0(VALU_DEP_1) | instskip(NEXT) | instid1(VALU_DEP_1)
	v_lshrrev_b64 v[24:25], 30, v[24:25]
	v_mul_u64_e32 v[24:25], 0x7fffffff, v[24:25]
	s_delay_alu instid0(VALU_DEP_1)
	v_sub_nc_u64_e32 v[18:19], v[18:19], v[24:25]
	s_branch .LBB27_825
.LBB27_828:
	s_or_b32 exec_lo, exec_lo, s17
	v_add_min_u32_e64 v7, 0x80000001, v26, v26
	s_delay_alu instid0(VALU_DEP_1)
	v_add_min_u32_e64 v23, 0x80000001, v7, v7
.LBB27_829:
	s_or_b32 exec_lo, exec_lo, s5
	v_mov_b32_e32 v7, 0
	s_movk_i32 s7, 0x1388
	s_brev_b32 s8, 12
.LBB27_830:                             ; =>This Inner Loop Header: Depth=1
	v_mul_hi_u32 v22, 0xbc8f1391, v23
	s_add_co_i32 s7, s7, -2
	s_delay_alu instid0(VALU_DEP_2) | instskip(SKIP_1) | instid1(VALU_DEP_2)
	v_add_f32_e32 v31, 1.0, v7
	s_cmp_lg_u32 s7, 0
	v_lshrrev_b32_e32 v22, 15, v22
	s_delay_alu instid0(VALU_DEP_1) | instskip(NEXT) | instid1(VALU_DEP_1)
	v_mul_u32_u24_e32 v24, 0xadc8, v22
	v_sub_nc_u32_e32 v23, v23, v24
	v_mul_u32_u24_e32 v22, 0xd47, v22
	s_delay_alu instid0(VALU_DEP_2) | instskip(NEXT) | instid1(VALU_DEP_2)
	v_mul_lo_u32 v23, 0xbc8f, v23
	v_xor_b32_e32 v24, 0x7fffffff, v22
	v_sub_nc_u32_e32 v25, 0, v22
	s_delay_alu instid0(VALU_DEP_3) | instskip(NEXT) | instid1(VALU_DEP_2)
	v_cmp_lt_u32_e32 vcc_lo, v23, v22
	v_cndmask_b32_e32 v22, v25, v24, vcc_lo
	s_delay_alu instid0(VALU_DEP_1) | instskip(NEXT) | instid1(VALU_DEP_1)
	v_add_nc_u32_e32 v22, v22, v23
	v_mul_hi_u32 v23, 0xbc8f1391, v22
	s_delay_alu instid0(VALU_DEP_1) | instskip(NEXT) | instid1(VALU_DEP_1)
	v_lshrrev_b32_e32 v23, 15, v23
	v_mul_u32_u24_e32 v24, 0xadc8, v23
	v_mul_u32_u24_e32 v23, 0xd47, v23
	s_delay_alu instid0(VALU_DEP_1) | instskip(SKIP_2) | instid1(VALU_DEP_3)
	v_dual_sub_nc_u32 v24, v22, v24 :: v_dual_sub_nc_u32 v26, 0, v23
	v_xor_b32_e32 v25, 0x7fffffff, v23
	v_add_nc_u32_e32 v22, -1, v22
	v_mul_lo_u32 v24, 0xbc8f, v24
	s_delay_alu instid0(VALU_DEP_1) | instskip(NEXT) | instid1(VALU_DEP_4)
	v_cmp_lt_u32_e32 vcc_lo, v24, v23
	v_cndmask_b32_e32 v23, v26, v25, vcc_lo
	s_delay_alu instid0(VALU_DEP_1) | instskip(NEXT) | instid1(VALU_DEP_1)
	v_add_nc_u32_e32 v23, v23, v24
	v_mul_hi_u32 v24, 0xbc8f1391, v23
	s_delay_alu instid0(VALU_DEP_1) | instskip(NEXT) | instid1(VALU_DEP_1)
	v_lshrrev_b32_e32 v24, 15, v24
	v_mul_u32_u24_e32 v25, 0xadc8, v24
	v_mul_u32_u24_e32 v24, 0xd47, v24
	s_delay_alu instid0(VALU_DEP_1) | instskip(SKIP_2) | instid1(VALU_DEP_3)
	v_dual_sub_nc_u32 v27, 0, v24 :: v_dual_sub_nc_u32 v25, v23, v25
	v_xor_b32_e32 v26, 0x7fffffff, v24
	v_add_nc_u32_e32 v23, -1, v23
	v_mul_lo_u32 v25, 0xbc8f, v25
	s_delay_alu instid0(VALU_DEP_1) | instskip(NEXT) | instid1(VALU_DEP_4)
	v_cmp_lt_u32_e32 vcc_lo, v25, v24
	v_cndmask_b32_e32 v24, v27, v26, vcc_lo
	s_delay_alu instid0(VALU_DEP_1) | instskip(NEXT) | instid1(VALU_DEP_1)
	v_add_nc_u32_e32 v26, v24, v25
	v_mul_hi_u32 v24, 0xbc8f1391, v26
	s_delay_alu instid0(VALU_DEP_1) | instskip(NEXT) | instid1(VALU_DEP_1)
	v_lshrrev_b32_e32 v24, 15, v24
	v_mul_u32_u24_e32 v25, 0xadc8, v24
	s_delay_alu instid0(VALU_DEP_1) | instskip(NEXT) | instid1(VALU_DEP_1)
	v_sub_nc_u32_e32 v25, v26, v25
	v_mul_lo_u32 v27, 0xbc8f, v25
	v_mul_u32_u24_e32 v25, 0xd47, v24
	v_cvt_f32_u32_e32 v24, v22
	s_delay_alu instid0(VALU_DEP_2) | instskip(SKIP_3) | instid1(VALU_DEP_3)
	v_xor_b32_e32 v22, 0x7fffffff, v25
	v_sub_nc_u32_e32 v32, 0, v25
	v_cmp_lt_u32_e32 vcc_lo, v27, v25
	v_cvt_f32_u32_e32 v25, v23
	v_cndmask_b32_e32 v22, v32, v22, vcc_lo
	s_delay_alu instid0(VALU_DEP_2) | instskip(NEXT) | instid1(VALU_DEP_2)
	v_pk_fma_f32 v[24:25], v[24:25], s[8:9], 0 op_sel_hi:[1,0,0]
	v_dual_add_nc_u32 v23, v22, v27 :: v_dual_add_nc_u32 v22, -1, v26
	s_delay_alu instid0(VALU_DEP_2) | instskip(NEXT) | instid1(VALU_DEP_2)
	v_pk_mul_f32 v[24:25], v[24:25], v[24:25]
	v_add_nc_u32_e32 v27, -1, v23
	s_delay_alu instid0(VALU_DEP_3) | instskip(NEXT) | instid1(VALU_DEP_3)
	v_cvt_f32_u32_e32 v26, v22
	v_add_f32_e32 v22, v24, v25
	s_delay_alu instid0(VALU_DEP_3) | instskip(NEXT) | instid1(VALU_DEP_2)
	v_cvt_f32_u32_e32 v27, v27
	v_cmp_gt_f32_e32 vcc_lo, 0xf800000, v22
	s_delay_alu instid0(VALU_DEP_2) | instskip(SKIP_1) | instid1(VALU_DEP_2)
	v_pk_fma_f32 v[24:25], v[26:27], s[8:9], 0 op_sel_hi:[1,0,0]
	v_mul_f32_e32 v26, 0x4f800000, v22
	v_pk_mul_f32 v[24:25], v[24:25], v[24:25]
	s_delay_alu instid0(VALU_DEP_1) | instskip(NEXT) | instid1(VALU_DEP_1)
	v_add_f32_e32 v24, v24, v25
	v_cmp_gt_f32_e64 s5, 0xf800000, v24
	s_delay_alu instid0(VALU_DEP_4) | instskip(SKIP_1) | instid1(VALU_DEP_1)
	v_cndmask_b32_e32 v22, v22, v26, vcc_lo
	v_mul_f32_e32 v26, 0x4f800000, v24
	v_cndmask_b32_e64 v24, v24, v26, s5
	s_delay_alu instid0(VALU_DEP_3) | instskip(NEXT) | instid1(VALU_DEP_1)
	v_sqrt_f32_e32 v25, v22
	v_sqrt_f32_e32 v33, v24
	s_delay_alu instid0(TRANS32_DEP_2) | instskip(NEXT) | instid1(VALU_DEP_1)
	v_dual_add_nc_u32 v27, -1, v25 :: v_dual_add_nc_u32 v26, 1, v25
	v_fma_f32 v32, -v27, v25, v22
	s_delay_alu instid0(VALU_DEP_1) | instskip(NEXT) | instid1(VALU_DEP_1)
	v_cmp_ge_f32_e64 s6, 0, v32
	v_dual_fma_f32 v34, -v26, v25, v22 :: v_dual_cndmask_b32 v25, v25, v27, s6
	s_delay_alu instid0(VALU_DEP_1)
	v_cmp_lt_f32_e64 s6, 0, v34
	s_delay_alu instid0(TRANS32_DEP_1) | instid1(VALU_DEP_1)
	v_dual_add_nc_u32 v27, -1, v33 :: v_dual_cndmask_b32 v25, v25, v26, s6
	s_delay_alu instid0(VALU_DEP_1) | instskip(NEXT) | instid1(VALU_DEP_1)
	v_dual_add_nc_u32 v26, 1, v33 :: v_dual_fma_f32 v32, -v27, v33, v24
	v_fma_f32 v35, -v26, v33, v24
	s_delay_alu instid0(VALU_DEP_2) | instskip(NEXT) | instid1(VALU_DEP_1)
	v_cmp_ge_f32_e64 s6, 0, v32
	v_cndmask_b32_e64 v27, v33, v27, s6
	s_delay_alu instid0(VALU_DEP_3) | instskip(NEXT) | instid1(VALU_DEP_1)
	v_cmp_lt_f32_e64 s6, 0, v35
	v_cndmask_b32_e64 v26, v27, v26, s6
	v_mul_f32_e32 v34, 0x37800000, v25
	s_delay_alu instid0(VALU_DEP_1) | instskip(SKIP_1) | instid1(VALU_DEP_2)
	v_cndmask_b32_e32 v25, v25, v34, vcc_lo
	v_cmp_class_f32_e64 vcc_lo, v22, 0x260
	v_cndmask_b32_e32 v22, v25, v22, vcc_lo
	v_mul_f32_e32 v25, 0x37800000, v26
	s_delay_alu instid0(VALU_DEP_2) | instskip(NEXT) | instid1(VALU_DEP_2)
	v_cmp_nge_f32_e32 vcc_lo, 1.0, v22
	v_dual_cndmask_b32 v22, v26, v25, s5 :: v_dual_cndmask_b32 v7, v31, v7, vcc_lo
	v_cmp_class_f32_e64 vcc_lo, v24, 0x260
	s_delay_alu instid0(VALU_DEP_2) | instskip(NEXT) | instid1(VALU_DEP_1)
	v_dual_add_f32 v25, 1.0, v7 :: v_dual_cndmask_b32 v22, v22, v24
	v_cmp_nge_f32_e32 vcc_lo, 1.0, v22
	s_delay_alu instid0(VALU_DEP_2)
	v_cndmask_b32_e32 v7, v25, v7, vcc_lo
	s_cbranch_scc1 .LBB27_830
; %bb.831:
	s_delay_alu instid0(VALU_DEP_1) | instskip(NEXT) | instid1(VALU_DEP_1)
	v_mul_f32_e32 v7, 4.0, v7
	v_div_scale_f32 v22, null, 0x459c4000, 0x459c4000, v7
	s_delay_alu instid0(VALU_DEP_1) | instskip(SKIP_1) | instid1(TRANS32_DEP_1)
	v_rcp_f32_e32 v23, v22
	v_nop
	v_fma_f32 v24, -v22, v23, 1.0
	s_delay_alu instid0(VALU_DEP_1) | instskip(SKIP_1) | instid1(VALU_DEP_1)
	v_fmac_f32_e32 v23, v24, v23
	v_div_scale_f32 v24, vcc_lo, v7, 0x459c4000, v7
	v_mul_f32_e32 v25, v24, v23
	s_delay_alu instid0(VALU_DEP_1) | instskip(NEXT) | instid1(VALU_DEP_1)
	v_fma_f32 v26, -v22, v25, v24
	v_fmac_f32_e32 v25, v26, v23
	s_delay_alu instid0(VALU_DEP_1) | instskip(NEXT) | instid1(VALU_DEP_1)
	v_fma_f32 v22, -v22, v25, v24
	v_div_fmas_f32 v22, v22, v23, v25
	s_delay_alu instid0(VALU_DEP_1)
	v_div_fixup_f32 v7, v22, 0x459c4000, v7
.LBB27_832:
	s_or_b32 exec_lo, exec_lo, s16
	v_add_nc_u32_e32 v22, 0x600, v50
	s_delay_alu instid0(VALU_DEP_1)
	v_cmp_lt_u32_e64 s5, v22, v29
	s_and_saveexec_b32 s16, s5
	s_cbranch_execz .LBB27_862
; %bb.833:
	v_dual_mov_b32 v23, 1 :: v_dual_add_nc_u32 v8, v30, v22
	s_mov_b32 s7, 0
	s_mov_b32 s17, exec_lo
	s_delay_alu instid0(VALU_DEP_1) | instskip(NEXT) | instid1(VALU_DEP_1)
	v_mul_lo_u32 v22, 0x1388, v8
	v_cmpx_ne_u32_e32 0, v22
	s_cbranch_execz .LBB27_859
; %bb.834:
	v_mov_b32_e32 v23, 0
	v_mov_b64_e32 v[26:27], 1
	s_mov_b64 s[14:15], 0xbc8f
	s_mov_b64 s[8:9], 0xfffffffd
	;; [unrolled: 1-line block ×3, first 2 shown]
	v_mov_b64_e32 v[24:25], v[22:23]
	s_mov_b64 s[12:13], 0x80000001
	s_mov_b32 s20, 0
	s_branch .LBB27_836
.LBB27_835:                             ;   in Loop: Header=BB27_836 Depth=1
	s_or_b32 exec_lo, exec_lo, s6
	s_mul_u64 s[14:15], s[14:15], s[14:15]
	s_mov_b32 s23, s7
	s_and_b64 s[24:25], s[14:15], s[8:9]
	s_mov_b32 s6, s15
	s_mul_u64 s[26:27], s[24:25], 3
	s_mul_u64 s[42:43], s[6:7], 3
	s_mov_b32 s22, s27
	s_mul_u64 s[24:25], s[24:25], s[12:13]
	s_add_nc_u64 s[22:23], s[42:43], s[22:23]
	v_lshrrev_b64 v[32:33], 1, v[24:25]
	s_and_b64 s[42:43], s[22:23], s[10:11]
	s_mov_b32 s27, s7
	s_add_nc_u64 s[24:25], s[24:25], s[42:43]
	s_mov_b32 s45, s7
	s_mov_b32 s26, s23
	s_mov_b32 s44, s25
	s_mul_u64 s[24:25], s[6:7], s[12:13]
	s_add_nc_u64 s[22:23], s[26:27], s[44:45]
	v_cmp_gt_u64_e32 vcc_lo, 2, v[24:25]
	s_add_nc_u64 s[22:23], s[24:25], s[22:23]
	v_mov_b64_e32 v[24:25], v[32:33]
	s_lshr_b64 s[22:23], s[22:23], 30
	s_delay_alu instid0(SALU_CYCLE_1)
	s_mul_u64 s[22:23], s[22:23], 0x7fffffff
	s_or_b32 s20, vcc_lo, s20
	s_sub_nc_u64 s[14:15], s[14:15], s[22:23]
	s_and_not1_b32 exec_lo, exec_lo, s20
	s_cbranch_execz .LBB27_858
.LBB27_836:                             ; =>This Inner Loop Header: Depth=1
	s_delay_alu instid0(VALU_DEP_1) | instskip(SKIP_1) | instid1(VALU_DEP_1)
	v_and_b32_e32 v8, 1, v24
	s_mov_b32 s6, exec_lo
	v_cmpx_eq_u32_e32 1, v8
	s_cbranch_execz .LBB27_835
; %bb.837:                              ;   in Loop: Header=BB27_836 Depth=1
	v_mul_u64_e32 v[26:27], s[14:15], v[26:27]
	s_delay_alu instid0(VALU_DEP_1) | instskip(NEXT) | instid1(VALU_DEP_1)
	v_mov_b32_e32 v22, v26
	v_mul_u64_e32 v[32:33], 5, v[22:23]
	s_delay_alu instid0(VALU_DEP_1) | instskip(NEXT) | instid1(VALU_DEP_1)
	v_mov_b32_e32 v22, v33
	v_mad_nc_u64_u32 v[32:33], v27, 5, v[22:23]
	s_delay_alu instid0(VALU_DEP_1) | instskip(NEXT) | instid1(VALU_DEP_1)
	v_dual_mov_b32 v22, v33 :: v_dual_mov_b32 v33, v23
	v_mad_nc_u64_u32 v[32:33], v26, 2, v[32:33]
	s_delay_alu instid0(VALU_DEP_1) | instskip(NEXT) | instid1(VALU_DEP_1)
	v_dual_mov_b32 v32, v33 :: v_dual_mov_b32 v33, v23
	v_add_nc_u64_e32 v[32:33], v[22:23], v[32:33]
	s_delay_alu instid0(VALU_DEP_1) | instskip(NEXT) | instid1(VALU_DEP_1)
	v_mad_nc_u64_u32 v[32:33], v27, 2, v[32:33]
	v_sub_nc_u64_e32 v[34:35], v[26:27], v[32:33]
	s_delay_alu instid0(VALU_DEP_1) | instskip(NEXT) | instid1(VALU_DEP_1)
	v_lshrrev_b64 v[34:35], 1, v[34:35]
	v_add_nc_u64_e32 v[32:33], v[34:35], v[32:33]
	s_delay_alu instid0(VALU_DEP_1) | instskip(NEXT) | instid1(VALU_DEP_1)
	v_lshrrev_b64 v[32:33], 30, v[32:33]
	v_mul_u64_e32 v[32:33], 0x7fffffff, v[32:33]
	s_delay_alu instid0(VALU_DEP_1)
	v_sub_nc_u64_e32 v[26:27], v[26:27], v[32:33]
	s_branch .LBB27_835
.LBB27_838:
	s_or_b32 exec_lo, exec_lo, s17
	v_add_min_u32_e64 v5, 0x80000001, v48, v48
	s_delay_alu instid0(VALU_DEP_1)
	v_add_min_u32_e64 v37, 0x80000001, v5, v5
.LBB27_839:
	s_or_b32 exec_lo, exec_lo, s5
	v_mov_b32_e32 v5, 0
	s_movk_i32 s7, 0x1388
	s_brev_b32 s8, 12
.LBB27_840:                             ; =>This Inner Loop Header: Depth=1
	v_mul_hi_u32 v36, 0xbc8f1391, v37
	s_add_co_i32 s7, s7, -2
	s_delay_alu instid0(VALU_DEP_2) | instskip(SKIP_1) | instid1(VALU_DEP_2)
	v_add_f32_e32 v54, 1.0, v5
	s_cmp_lg_u32 s7, 0
	v_lshrrev_b32_e32 v36, 15, v36
	s_delay_alu instid0(VALU_DEP_1) | instskip(NEXT) | instid1(VALU_DEP_1)
	v_mul_u32_u24_e32 v38, 0xadc8, v36
	v_sub_nc_u32_e32 v37, v37, v38
	v_mul_u32_u24_e32 v36, 0xd47, v36
	s_delay_alu instid0(VALU_DEP_2) | instskip(NEXT) | instid1(VALU_DEP_2)
	v_mul_lo_u32 v37, 0xbc8f, v37
	v_xor_b32_e32 v38, 0x7fffffff, v36
	v_sub_nc_u32_e32 v39, 0, v36
	s_delay_alu instid0(VALU_DEP_3) | instskip(NEXT) | instid1(VALU_DEP_2)
	v_cmp_lt_u32_e32 vcc_lo, v37, v36
	v_cndmask_b32_e32 v36, v39, v38, vcc_lo
	s_delay_alu instid0(VALU_DEP_1) | instskip(NEXT) | instid1(VALU_DEP_1)
	v_add_nc_u32_e32 v36, v36, v37
	v_mul_hi_u32 v37, 0xbc8f1391, v36
	s_delay_alu instid0(VALU_DEP_1) | instskip(NEXT) | instid1(VALU_DEP_1)
	v_lshrrev_b32_e32 v37, 15, v37
	v_mul_u32_u24_e32 v38, 0xadc8, v37
	v_mul_u32_u24_e32 v37, 0xd47, v37
	s_delay_alu instid0(VALU_DEP_1) | instskip(SKIP_2) | instid1(VALU_DEP_3)
	v_dual_sub_nc_u32 v38, v36, v38 :: v_dual_sub_nc_u32 v48, 0, v37
	v_xor_b32_e32 v39, 0x7fffffff, v37
	v_add_nc_u32_e32 v36, -1, v36
	v_mul_lo_u32 v38, 0xbc8f, v38
	s_delay_alu instid0(VALU_DEP_1) | instskip(NEXT) | instid1(VALU_DEP_4)
	v_cmp_lt_u32_e32 vcc_lo, v38, v37
	v_cndmask_b32_e32 v37, v48, v39, vcc_lo
	s_delay_alu instid0(VALU_DEP_1) | instskip(NEXT) | instid1(VALU_DEP_1)
	v_add_nc_u32_e32 v37, v37, v38
	v_mul_hi_u32 v38, 0xbc8f1391, v37
	s_delay_alu instid0(VALU_DEP_1) | instskip(NEXT) | instid1(VALU_DEP_1)
	v_lshrrev_b32_e32 v38, 15, v38
	v_mul_u32_u24_e32 v39, 0xadc8, v38
	v_mul_u32_u24_e32 v38, 0xd47, v38
	s_delay_alu instid0(VALU_DEP_1) | instskip(SKIP_2) | instid1(VALU_DEP_3)
	v_dual_sub_nc_u32 v49, 0, v38 :: v_dual_sub_nc_u32 v39, v37, v39
	v_xor_b32_e32 v48, 0x7fffffff, v38
	v_add_nc_u32_e32 v37, -1, v37
	v_mul_lo_u32 v39, 0xbc8f, v39
	s_delay_alu instid0(VALU_DEP_1) | instskip(NEXT) | instid1(VALU_DEP_4)
	v_cmp_lt_u32_e32 vcc_lo, v39, v38
	v_cndmask_b32_e32 v38, v49, v48, vcc_lo
	s_delay_alu instid0(VALU_DEP_1) | instskip(NEXT) | instid1(VALU_DEP_1)
	v_add_nc_u32_e32 v48, v38, v39
	v_mul_hi_u32 v38, 0xbc8f1391, v48
	s_delay_alu instid0(VALU_DEP_1) | instskip(NEXT) | instid1(VALU_DEP_1)
	v_lshrrev_b32_e32 v38, 15, v38
	v_mul_u32_u24_e32 v39, 0xadc8, v38
	s_delay_alu instid0(VALU_DEP_1) | instskip(NEXT) | instid1(VALU_DEP_1)
	v_sub_nc_u32_e32 v39, v48, v39
	v_mul_lo_u32 v49, 0xbc8f, v39
	v_mul_u32_u24_e32 v39, 0xd47, v38
	v_cvt_f32_u32_e32 v38, v36
	s_delay_alu instid0(VALU_DEP_2) | instskip(SKIP_3) | instid1(VALU_DEP_3)
	v_xor_b32_e32 v36, 0x7fffffff, v39
	v_sub_nc_u32_e32 v55, 0, v39
	v_cmp_lt_u32_e32 vcc_lo, v49, v39
	v_cvt_f32_u32_e32 v39, v37
	v_cndmask_b32_e32 v36, v55, v36, vcc_lo
	s_delay_alu instid0(VALU_DEP_2) | instskip(NEXT) | instid1(VALU_DEP_2)
	v_pk_fma_f32 v[38:39], v[38:39], s[8:9], 0 op_sel_hi:[1,0,0]
	v_dual_add_nc_u32 v37, v36, v49 :: v_dual_add_nc_u32 v36, -1, v48
	s_delay_alu instid0(VALU_DEP_2) | instskip(NEXT) | instid1(VALU_DEP_2)
	v_pk_mul_f32 v[38:39], v[38:39], v[38:39]
	v_add_nc_u32_e32 v49, -1, v37
	s_delay_alu instid0(VALU_DEP_3) | instskip(NEXT) | instid1(VALU_DEP_3)
	v_cvt_f32_u32_e32 v48, v36
	v_add_f32_e32 v36, v38, v39
	s_delay_alu instid0(VALU_DEP_3) | instskip(NEXT) | instid1(VALU_DEP_2)
	v_cvt_f32_u32_e32 v49, v49
	v_cmp_gt_f32_e32 vcc_lo, 0xf800000, v36
	s_delay_alu instid0(VALU_DEP_2) | instskip(SKIP_1) | instid1(VALU_DEP_2)
	v_pk_fma_f32 v[38:39], v[48:49], s[8:9], 0 op_sel_hi:[1,0,0]
	v_mul_f32_e32 v48, 0x4f800000, v36
	v_pk_mul_f32 v[38:39], v[38:39], v[38:39]
	s_delay_alu instid0(VALU_DEP_1) | instskip(NEXT) | instid1(VALU_DEP_1)
	v_add_f32_e32 v38, v38, v39
	v_cmp_gt_f32_e64 s5, 0xf800000, v38
	s_delay_alu instid0(VALU_DEP_4) | instskip(SKIP_1) | instid1(VALU_DEP_1)
	v_cndmask_b32_e32 v36, v36, v48, vcc_lo
	v_mul_f32_e32 v48, 0x4f800000, v38
	v_cndmask_b32_e64 v38, v38, v48, s5
	s_delay_alu instid0(VALU_DEP_3) | instskip(NEXT) | instid1(VALU_DEP_1)
	v_sqrt_f32_e32 v39, v36
	v_sqrt_f32_e32 v64, v38
	s_delay_alu instid0(TRANS32_DEP_2) | instskip(NEXT) | instid1(VALU_DEP_1)
	v_dual_add_nc_u32 v49, -1, v39 :: v_dual_add_nc_u32 v48, 1, v39
	v_fma_f32 v55, -v49, v39, v36
	s_delay_alu instid0(VALU_DEP_1) | instskip(NEXT) | instid1(VALU_DEP_1)
	v_cmp_ge_f32_e64 s6, 0, v55
	v_dual_fma_f32 v65, -v48, v39, v36 :: v_dual_cndmask_b32 v39, v39, v49, s6
	s_delay_alu instid0(VALU_DEP_1) | instskip(NEXT) | instid1(TRANS32_DEP_1)
	v_cmp_lt_f32_e64 s6, 0, v65
	v_add_nc_u32_e32 v49, -1, v64
	s_delay_alu instid0(VALU_DEP_2) | instskip(NEXT) | instid1(VALU_DEP_2)
	v_cndmask_b32_e64 v39, v39, v48, s6
	v_dual_add_nc_u32 v48, 1, v64 :: v_dual_fma_f32 v55, -v49, v64, v38
	s_delay_alu instid0(VALU_DEP_1) | instskip(NEXT) | instid1(VALU_DEP_1)
	v_cmp_ge_f32_e64 s6, 0, v55
	v_cndmask_b32_e64 v49, v64, v49, s6
	s_delay_alu instid0(VALU_DEP_4) | instskip(NEXT) | instid1(VALU_DEP_1)
	v_mul_f32_e32 v65, 0x37800000, v39
	v_cndmask_b32_e32 v39, v39, v65, vcc_lo
	v_cmp_class_f32_e64 vcc_lo, v36, 0x260
	s_delay_alu instid0(VALU_DEP_2) | instskip(NEXT) | instid1(VALU_DEP_1)
	v_cndmask_b32_e32 v36, v39, v36, vcc_lo
	v_cmp_nge_f32_e32 vcc_lo, 1.0, v36
	s_delay_alu instid0(VALU_DEP_3) | instskip(NEXT) | instid1(VALU_DEP_1)
	v_dual_fma_f32 v66, -v48, v64, v38 :: v_dual_cndmask_b32 v5, v54, v5, vcc_lo
	v_cmp_lt_f32_e64 s6, 0, v66
	v_cmp_class_f32_e64 vcc_lo, v38, 0x260
	s_delay_alu instid0(VALU_DEP_2) | instskip(NEXT) | instid1(VALU_DEP_1)
	v_cndmask_b32_e64 v48, v49, v48, s6
	v_mul_f32_e32 v39, 0x37800000, v48
	s_delay_alu instid0(VALU_DEP_1) | instskip(NEXT) | instid1(VALU_DEP_1)
	v_dual_cndmask_b32 v36, v48, v39, s5 :: v_dual_add_f32 v39, 1.0, v5
	v_cndmask_b32_e32 v36, v36, v38, vcc_lo
	s_delay_alu instid0(VALU_DEP_1) | instskip(NEXT) | instid1(VALU_DEP_3)
	v_cmp_nge_f32_e32 vcc_lo, 1.0, v36
	v_cndmask_b32_e32 v5, v39, v5, vcc_lo
	s_cbranch_scc1 .LBB27_840
; %bb.841:
	s_delay_alu instid0(VALU_DEP_1) | instskip(NEXT) | instid1(VALU_DEP_1)
	v_mul_f32_e32 v5, 4.0, v5
	v_div_scale_f32 v36, null, 0x459c4000, 0x459c4000, v5
	s_delay_alu instid0(VALU_DEP_1) | instskip(SKIP_1) | instid1(TRANS32_DEP_1)
	v_rcp_f32_e32 v37, v36
	v_nop
	v_fma_f32 v38, -v36, v37, 1.0
	s_delay_alu instid0(VALU_DEP_1) | instskip(SKIP_1) | instid1(VALU_DEP_1)
	v_fmac_f32_e32 v37, v38, v37
	v_div_scale_f32 v38, vcc_lo, v5, 0x459c4000, v5
	v_mul_f32_e32 v39, v38, v37
	s_delay_alu instid0(VALU_DEP_1) | instskip(NEXT) | instid1(VALU_DEP_1)
	v_fma_f32 v48, -v36, v39, v38
	v_fmac_f32_e32 v39, v48, v37
	s_delay_alu instid0(VALU_DEP_1) | instskip(NEXT) | instid1(VALU_DEP_1)
	v_fma_f32 v36, -v36, v39, v38
	v_div_fmas_f32 v36, v36, v37, v39
	s_delay_alu instid0(VALU_DEP_1)
	v_div_fixup_f32 v5, v36, 0x459c4000, v5
.LBB27_842:
	s_or_b32 exec_lo, exec_lo, s16
	v_add_nc_u32_e32 v36, 0x600, v50
	s_delay_alu instid0(VALU_DEP_1)
	v_cmp_lt_u32_e64 s5, v36, v52
	s_and_saveexec_b32 s16, s5
	s_cbranch_execz .LBB27_872
; %bb.843:
	v_dual_mov_b32 v37, 1 :: v_dual_add_nc_u32 v6, v53, v36
	s_mov_b32 s7, 0
	s_mov_b32 s17, exec_lo
	s_delay_alu instid0(VALU_DEP_1) | instskip(NEXT) | instid1(VALU_DEP_1)
	v_mul_lo_u32 v36, 0x1388, v6
	v_cmpx_ne_u32_e32 0, v36
	s_cbranch_execz .LBB27_869
; %bb.844:
	v_mov_b32_e32 v37, 0
	v_mov_b64_e32 v[48:49], 1
	s_mov_b64 s[14:15], 0xbc8f
	s_mov_b64 s[8:9], 0xfffffffd
	;; [unrolled: 1-line block ×3, first 2 shown]
	v_mov_b64_e32 v[38:39], v[36:37]
	s_mov_b64 s[12:13], 0x80000001
	s_mov_b32 s18, 0
	s_branch .LBB27_846
.LBB27_845:                             ;   in Loop: Header=BB27_846 Depth=1
	s_or_b32 exec_lo, exec_lo, s6
	s_mul_u64 s[14:15], s[14:15], s[14:15]
	s_mov_b32 s21, s7
	s_and_b64 s[22:23], s[14:15], s[8:9]
	s_mov_b32 s6, s15
	s_mul_u64 s[24:25], s[22:23], 3
	s_mul_u64 s[26:27], s[6:7], 3
	s_mov_b32 s20, s25
	s_mul_u64 s[22:23], s[22:23], s[12:13]
	s_add_nc_u64 s[20:21], s[26:27], s[20:21]
	v_lshrrev_b64 v[54:55], 1, v[38:39]
	s_and_b64 s[26:27], s[20:21], s[10:11]
	s_mov_b32 s25, s7
	s_add_nc_u64 s[22:23], s[22:23], s[26:27]
	s_mov_b32 s29, s7
	s_mov_b32 s24, s21
	;; [unrolled: 1-line block ×3, first 2 shown]
	s_mul_u64 s[22:23], s[6:7], s[12:13]
	s_add_nc_u64 s[20:21], s[24:25], s[28:29]
	v_cmp_gt_u64_e32 vcc_lo, 2, v[38:39]
	s_add_nc_u64 s[20:21], s[22:23], s[20:21]
	v_mov_b64_e32 v[38:39], v[54:55]
	s_lshr_b64 s[20:21], s[20:21], 30
	s_delay_alu instid0(SALU_CYCLE_1)
	s_mul_u64 s[20:21], s[20:21], 0x7fffffff
	s_or_b32 s18, vcc_lo, s18
	s_sub_nc_u64 s[14:15], s[14:15], s[20:21]
	s_and_not1_b32 exec_lo, exec_lo, s18
	s_cbranch_execz .LBB27_868
.LBB27_846:                             ; =>This Inner Loop Header: Depth=1
	s_delay_alu instid0(VALU_DEP_1) | instskip(SKIP_1) | instid1(VALU_DEP_1)
	v_and_b32_e32 v6, 1, v38
	s_mov_b32 s6, exec_lo
	v_cmpx_eq_u32_e32 1, v6
	s_cbranch_execz .LBB27_845
; %bb.847:                              ;   in Loop: Header=BB27_846 Depth=1
	v_mul_u64_e32 v[48:49], s[14:15], v[48:49]
	s_delay_alu instid0(VALU_DEP_1) | instskip(NEXT) | instid1(VALU_DEP_1)
	v_mov_b32_e32 v36, v48
	v_mul_u64_e32 v[54:55], 5, v[36:37]
	s_delay_alu instid0(VALU_DEP_1) | instskip(NEXT) | instid1(VALU_DEP_1)
	v_mov_b32_e32 v36, v55
	v_mad_nc_u64_u32 v[54:55], v49, 5, v[36:37]
	s_delay_alu instid0(VALU_DEP_1) | instskip(NEXT) | instid1(VALU_DEP_1)
	v_dual_mov_b32 v36, v55 :: v_dual_mov_b32 v55, v37
	v_mad_nc_u64_u32 v[54:55], v48, 2, v[54:55]
	s_delay_alu instid0(VALU_DEP_1) | instskip(NEXT) | instid1(VALU_DEP_1)
	v_dual_mov_b32 v54, v55 :: v_dual_mov_b32 v55, v37
	v_add_nc_u64_e32 v[54:55], v[36:37], v[54:55]
	s_delay_alu instid0(VALU_DEP_1) | instskip(NEXT) | instid1(VALU_DEP_1)
	v_mad_nc_u64_u32 v[54:55], v49, 2, v[54:55]
	v_sub_nc_u64_e32 v[64:65], v[48:49], v[54:55]
	s_delay_alu instid0(VALU_DEP_1) | instskip(NEXT) | instid1(VALU_DEP_1)
	v_lshrrev_b64 v[64:65], 1, v[64:65]
	v_add_nc_u64_e32 v[54:55], v[64:65], v[54:55]
	s_delay_alu instid0(VALU_DEP_1) | instskip(NEXT) | instid1(VALU_DEP_1)
	v_lshrrev_b64 v[54:55], 30, v[54:55]
	v_mul_u64_e32 v[54:55], 0x7fffffff, v[54:55]
	s_delay_alu instid0(VALU_DEP_1)
	v_sub_nc_u64_e32 v[48:49], v[48:49], v[54:55]
	s_branch .LBB27_845
.LBB27_848:
	s_or_b32 exec_lo, exec_lo, s22
	v_add_min_u32_e64 v8, 0x80000001, v18, v18
	s_delay_alu instid0(VALU_DEP_1)
	v_add_min_u32_e64 v15, 0x80000001, v8, v8
.LBB27_849:
	s_or_b32 exec_lo, exec_lo, s19
	v_mov_b32_e32 v8, 0
	s_movk_i32 s9, 0x1388
	s_brev_b32 s8, 12
.LBB27_850:                             ; =>This Inner Loop Header: Depth=1
	v_mul_hi_u32 v14, 0xbc8f1391, v15
	s_delay_alu instid0(VALU_DEP_1) | instskip(NEXT) | instid1(VALU_DEP_1)
	v_dual_add_f32 v23, 1.0, v8 :: v_dual_lshrrev_b32 v14, 15, v14
	v_mul_u32_u24_e32 v16, 0xadc8, v14
	s_delay_alu instid0(VALU_DEP_1) | instskip(SKIP_1) | instid1(VALU_DEP_2)
	v_sub_nc_u32_e32 v15, v15, v16
	v_mul_u32_u24_e32 v14, 0xd47, v14
	v_mul_lo_u32 v15, 0xbc8f, v15
	s_delay_alu instid0(VALU_DEP_2) | instskip(SKIP_1) | instid1(VALU_DEP_3)
	v_xor_b32_e32 v16, 0x7fffffff, v14
	v_sub_nc_u32_e32 v17, 0, v14
	v_cmp_lt_u32_e32 vcc_lo, v15, v14
	s_delay_alu instid0(VALU_DEP_2) | instskip(NEXT) | instid1(VALU_DEP_1)
	v_cndmask_b32_e32 v14, v17, v16, vcc_lo
	v_add_nc_u32_e32 v14, v14, v15
	s_delay_alu instid0(VALU_DEP_1) | instskip(NEXT) | instid1(VALU_DEP_1)
	v_mul_hi_u32 v15, 0xbc8f1391, v14
	v_lshrrev_b32_e32 v15, 15, v15
	s_delay_alu instid0(VALU_DEP_1) | instskip(SKIP_1) | instid1(VALU_DEP_1)
	v_mul_u32_u24_e32 v16, 0xadc8, v15
	v_mul_u32_u24_e32 v15, 0xd47, v15
	v_dual_sub_nc_u32 v16, v14, v16 :: v_dual_sub_nc_u32 v18, 0, v15
	v_xor_b32_e32 v17, 0x7fffffff, v15
	v_add_nc_u32_e32 v14, -1, v14
	s_delay_alu instid0(VALU_DEP_3) | instskip(NEXT) | instid1(VALU_DEP_1)
	v_mul_lo_u32 v16, 0xbc8f, v16
	v_cmp_lt_u32_e32 vcc_lo, v16, v15
	s_delay_alu instid0(VALU_DEP_4) | instskip(NEXT) | instid1(VALU_DEP_1)
	v_cndmask_b32_e32 v15, v18, v17, vcc_lo
	v_add_nc_u32_e32 v15, v15, v16
	s_delay_alu instid0(VALU_DEP_1) | instskip(NEXT) | instid1(VALU_DEP_1)
	v_mul_hi_u32 v16, 0xbc8f1391, v15
	v_lshrrev_b32_e32 v16, 15, v16
	s_delay_alu instid0(VALU_DEP_1) | instskip(SKIP_1) | instid1(VALU_DEP_1)
	v_mul_u32_u24_e32 v17, 0xadc8, v16
	v_mul_u32_u24_e32 v16, 0xd47, v16
	v_dual_sub_nc_u32 v19, 0, v16 :: v_dual_sub_nc_u32 v17, v15, v17
	v_xor_b32_e32 v18, 0x7fffffff, v16
	v_add_nc_u32_e32 v15, -1, v15
	s_delay_alu instid0(VALU_DEP_3) | instskip(NEXT) | instid1(VALU_DEP_1)
	v_mul_lo_u32 v17, 0xbc8f, v17
	v_cmp_lt_u32_e32 vcc_lo, v17, v16
	s_delay_alu instid0(VALU_DEP_4) | instskip(NEXT) | instid1(VALU_DEP_1)
	v_cndmask_b32_e32 v16, v19, v18, vcc_lo
	v_add_nc_u32_e32 v18, v16, v17
	s_delay_alu instid0(VALU_DEP_1) | instskip(NEXT) | instid1(VALU_DEP_1)
	v_mul_hi_u32 v16, 0xbc8f1391, v18
	v_lshrrev_b32_e32 v16, 15, v16
	s_delay_alu instid0(VALU_DEP_1) | instskip(NEXT) | instid1(VALU_DEP_1)
	v_mul_u32_u24_e32 v17, 0xadc8, v16
	v_sub_nc_u32_e32 v17, v18, v17
	s_delay_alu instid0(VALU_DEP_1) | instskip(SKIP_2) | instid1(VALU_DEP_2)
	v_mul_lo_u32 v19, 0xbc8f, v17
	v_mul_u32_u24_e32 v17, 0xd47, v16
	v_cvt_f32_u32_e32 v16, v14
	v_xor_b32_e32 v14, 0x7fffffff, v17
	v_sub_nc_u32_e32 v24, 0, v17
	v_cmp_lt_u32_e32 vcc_lo, v19, v17
	v_cvt_f32_u32_e32 v17, v15
	s_delay_alu instid0(VALU_DEP_3) | instskip(NEXT) | instid1(VALU_DEP_2)
	v_cndmask_b32_e32 v14, v24, v14, vcc_lo
	v_pk_fma_f32 v[16:17], v[16:17], s[8:9], 0 op_sel_hi:[1,0,0]
	s_delay_alu instid0(VALU_DEP_2) | instskip(NEXT) | instid1(VALU_DEP_2)
	v_dual_add_nc_u32 v15, v14, v19 :: v_dual_add_nc_u32 v14, -1, v18
	v_pk_mul_f32 v[16:17], v[16:17], v[16:17]
	s_delay_alu instid0(VALU_DEP_2) | instskip(NEXT) | instid1(VALU_DEP_3)
	v_add_nc_u32_e32 v19, -1, v15
	v_cvt_f32_u32_e32 v18, v14
	s_delay_alu instid0(VALU_DEP_3) | instskip(NEXT) | instid1(VALU_DEP_3)
	v_add_f32_e32 v14, v16, v17
	v_cvt_f32_u32_e32 v19, v19
	s_delay_alu instid0(VALU_DEP_2) | instskip(NEXT) | instid1(VALU_DEP_2)
	v_cmp_gt_f32_e32 vcc_lo, 0xf800000, v14
	v_pk_fma_f32 v[16:17], v[18:19], s[8:9], 0 op_sel_hi:[1,0,0]
	v_mul_f32_e32 v18, 0x4f800000, v14
	s_add_co_i32 s9, s9, -2
	s_delay_alu instid0(SALU_CYCLE_1) | instskip(NEXT) | instid1(VALU_DEP_2)
	s_cmp_lg_u32 s9, 0
	v_pk_mul_f32 v[16:17], v[16:17], v[16:17]
	s_delay_alu instid0(VALU_DEP_1) | instskip(NEXT) | instid1(VALU_DEP_1)
	v_add_f32_e32 v16, v16, v17
	v_cmp_gt_f32_e64 s6, 0xf800000, v16
	v_cndmask_b32_e32 v14, v14, v18, vcc_lo
	v_mul_f32_e32 v18, 0x4f800000, v16
	s_delay_alu instid0(VALU_DEP_1) | instskip(NEXT) | instid1(VALU_DEP_3)
	v_cndmask_b32_e64 v16, v16, v18, s6
	v_sqrt_f32_e32 v17, v14
	s_delay_alu instid0(VALU_DEP_1) | instskip(NEXT) | instid1(TRANS32_DEP_2)
	v_sqrt_f32_e32 v25, v16
	v_dual_add_nc_u32 v19, -1, v17 :: v_dual_add_nc_u32 v18, 1, v17
	s_delay_alu instid0(VALU_DEP_1) | instskip(NEXT) | instid1(VALU_DEP_1)
	v_fma_f32 v24, -v19, v17, v14
	v_cmp_ge_f32_e64 s7, 0, v24
	s_delay_alu instid0(VALU_DEP_1) | instskip(NEXT) | instid1(VALU_DEP_1)
	v_dual_fma_f32 v26, -v18, v17, v14 :: v_dual_cndmask_b32 v17, v17, v19, s7
	v_cmp_lt_f32_e64 s7, 0, v26
	s_delay_alu instid0(TRANS32_DEP_1) | instid1(VALU_DEP_1)
	v_dual_add_nc_u32 v19, -1, v25 :: v_dual_cndmask_b32 v17, v17, v18, s7
	s_delay_alu instid0(VALU_DEP_1) | instskip(NEXT) | instid1(VALU_DEP_1)
	v_dual_add_nc_u32 v18, 1, v25 :: v_dual_fma_f32 v24, -v19, v25, v16
	v_fma_f32 v27, -v18, v25, v16
	s_delay_alu instid0(VALU_DEP_2) | instskip(NEXT) | instid1(VALU_DEP_1)
	v_cmp_ge_f32_e64 s7, 0, v24
	v_cndmask_b32_e64 v19, v25, v19, s7
	s_delay_alu instid0(VALU_DEP_3) | instskip(NEXT) | instid1(VALU_DEP_1)
	v_cmp_lt_f32_e64 s7, 0, v27
	v_cndmask_b32_e64 v18, v19, v18, s7
	v_mul_f32_e32 v26, 0x37800000, v17
	s_delay_alu instid0(VALU_DEP_1) | instskip(SKIP_1) | instid1(VALU_DEP_2)
	v_cndmask_b32_e32 v17, v17, v26, vcc_lo
	v_cmp_class_f32_e64 vcc_lo, v14, 0x260
	v_cndmask_b32_e32 v14, v17, v14, vcc_lo
	v_mul_f32_e32 v17, 0x37800000, v18
	s_delay_alu instid0(VALU_DEP_2) | instskip(NEXT) | instid1(VALU_DEP_2)
	v_cmp_nge_f32_e32 vcc_lo, 1.0, v14
	v_dual_cndmask_b32 v14, v18, v17, s6 :: v_dual_cndmask_b32 v8, v23, v8, vcc_lo
	v_cmp_class_f32_e64 vcc_lo, v16, 0x260
	s_delay_alu instid0(VALU_DEP_2) | instskip(NEXT) | instid1(VALU_DEP_3)
	v_add_f32_e32 v17, 1.0, v8
	v_cndmask_b32_e32 v14, v14, v16, vcc_lo
	s_delay_alu instid0(VALU_DEP_1) | instskip(NEXT) | instid1(VALU_DEP_3)
	v_cmp_nge_f32_e32 vcc_lo, 1.0, v14
	v_cndmask_b32_e32 v8, v17, v8, vcc_lo
	s_cbranch_scc1 .LBB27_850
; %bb.851:
	s_delay_alu instid0(VALU_DEP_1) | instskip(NEXT) | instid1(VALU_DEP_1)
	v_mul_f32_e32 v8, 4.0, v8
	v_div_scale_f32 v14, null, 0x459c4000, 0x459c4000, v8
	s_delay_alu instid0(VALU_DEP_1) | instskip(SKIP_1) | instid1(TRANS32_DEP_1)
	v_rcp_f32_e32 v15, v14
	v_nop
	v_fma_f32 v16, -v14, v15, 1.0
	s_delay_alu instid0(VALU_DEP_1) | instskip(SKIP_1) | instid1(VALU_DEP_1)
	v_fmac_f32_e32 v15, v16, v15
	v_div_scale_f32 v16, vcc_lo, v8, 0x459c4000, v8
	v_mul_f32_e32 v17, v16, v15
	s_delay_alu instid0(VALU_DEP_1) | instskip(NEXT) | instid1(VALU_DEP_1)
	v_fma_f32 v18, -v14, v17, v16
	v_fmac_f32_e32 v17, v18, v15
	s_delay_alu instid0(VALU_DEP_1) | instskip(NEXT) | instid1(VALU_DEP_1)
	v_fma_f32 v14, -v14, v17, v16
	v_div_fmas_f32 v14, v14, v15, v17
	s_delay_alu instid0(VALU_DEP_1)
	v_div_fixup_f32 v8, v14, 0x459c4000, v8
.LBB27_852:
	s_or_b32 exec_lo, exec_lo, s18
	v_add_nc_u32_e32 v14, 0x700, v50
	s_delay_alu instid0(VALU_DEP_1)
	v_cmp_lt_u32_e64 s6, v14, v21
	s_and_saveexec_b32 s22, s6
	s_cbranch_execz .LBB27_882
; %bb.853:
	v_dual_add_nc_u32 v7, v22, v14 :: v_dual_mov_b32 v15, 1
	s_mov_b32 s9, 0
	s_mov_b32 s7, exec_lo
	s_delay_alu instid0(VALU_DEP_1) | instskip(NEXT) | instid1(VALU_DEP_1)
	v_mul_lo_u32 v14, 0x1388, v7
	v_cmpx_ne_u32_e32 0, v14
	s_cbranch_execz .LBB27_879
; %bb.854:
	v_mov_b32_e32 v15, 0
	v_mov_b64_e32 v[18:19], 1
	s_mov_b64 s[18:19], 0xbc8f
	s_mov_b64 s[12:13], 0xfffffffd
	;; [unrolled: 1-line block ×3, first 2 shown]
	v_mov_b64_e32 v[16:17], v[14:15]
	s_mov_b64 s[16:17], 0x80000001
	s_mov_b32 s23, 0
	s_branch .LBB27_856
.LBB27_855:                             ;   in Loop: Header=BB27_856 Depth=1
	s_or_b32 exec_lo, exec_lo, s8
	s_mul_u64 s[18:19], s[18:19], s[18:19]
	s_mov_b32 s25, s9
	s_and_b64 s[26:27], s[18:19], s[12:13]
	s_mov_b32 s8, s19
	s_mul_u64 s[40:41], s[26:27], 3
	s_mul_u64 s[42:43], s[8:9], 3
	s_mov_b32 s24, s41
	s_mul_u64 s[26:27], s[26:27], s[16:17]
	s_add_nc_u64 s[24:25], s[42:43], s[24:25]
	v_lshrrev_b64 v[22:23], 1, v[16:17]
	s_and_b64 s[42:43], s[24:25], s[14:15]
	s_mov_b32 s41, s9
	s_add_nc_u64 s[26:27], s[26:27], s[42:43]
	s_mov_b32 s45, s9
	s_mov_b32 s40, s25
	;; [unrolled: 1-line block ×3, first 2 shown]
	s_mul_u64 s[26:27], s[8:9], s[16:17]
	s_add_nc_u64 s[24:25], s[40:41], s[44:45]
	v_cmp_gt_u64_e32 vcc_lo, 2, v[16:17]
	s_add_nc_u64 s[24:25], s[26:27], s[24:25]
	v_mov_b64_e32 v[16:17], v[22:23]
	s_lshr_b64 s[24:25], s[24:25], 30
	s_delay_alu instid0(SALU_CYCLE_1)
	s_mul_u64 s[24:25], s[24:25], 0x7fffffff
	s_or_b32 s23, vcc_lo, s23
	s_sub_nc_u64 s[18:19], s[18:19], s[24:25]
	s_and_not1_b32 exec_lo, exec_lo, s23
	s_cbranch_execz .LBB27_878
.LBB27_856:                             ; =>This Inner Loop Header: Depth=1
	s_delay_alu instid0(VALU_DEP_1) | instskip(SKIP_1) | instid1(VALU_DEP_1)
	v_and_b32_e32 v7, 1, v16
	s_mov_b32 s8, exec_lo
	v_cmpx_eq_u32_e32 1, v7
	s_cbranch_execz .LBB27_855
; %bb.857:                              ;   in Loop: Header=BB27_856 Depth=1
	v_mul_u64_e32 v[18:19], s[18:19], v[18:19]
	s_delay_alu instid0(VALU_DEP_1) | instskip(NEXT) | instid1(VALU_DEP_1)
	v_mov_b32_e32 v14, v18
	v_mul_u64_e32 v[22:23], 5, v[14:15]
	s_delay_alu instid0(VALU_DEP_1) | instskip(NEXT) | instid1(VALU_DEP_1)
	v_mov_b32_e32 v14, v23
	v_mad_nc_u64_u32 v[22:23], v19, 5, v[14:15]
	s_delay_alu instid0(VALU_DEP_1) | instskip(NEXT) | instid1(VALU_DEP_1)
	v_dual_mov_b32 v14, v23 :: v_dual_mov_b32 v23, v15
	v_mad_nc_u64_u32 v[22:23], v18, 2, v[22:23]
	s_delay_alu instid0(VALU_DEP_1) | instskip(NEXT) | instid1(VALU_DEP_1)
	v_dual_mov_b32 v22, v23 :: v_dual_mov_b32 v23, v15
	v_add_nc_u64_e32 v[22:23], v[14:15], v[22:23]
	s_delay_alu instid0(VALU_DEP_1) | instskip(NEXT) | instid1(VALU_DEP_1)
	v_mad_nc_u64_u32 v[22:23], v19, 2, v[22:23]
	v_sub_nc_u64_e32 v[24:25], v[18:19], v[22:23]
	s_delay_alu instid0(VALU_DEP_1) | instskip(NEXT) | instid1(VALU_DEP_1)
	v_lshrrev_b64 v[24:25], 1, v[24:25]
	v_add_nc_u64_e32 v[22:23], v[24:25], v[22:23]
	s_delay_alu instid0(VALU_DEP_1) | instskip(NEXT) | instid1(VALU_DEP_1)
	v_lshrrev_b64 v[22:23], 30, v[22:23]
	v_mul_u64_e32 v[22:23], 0x7fffffff, v[22:23]
	s_delay_alu instid0(VALU_DEP_1)
	v_sub_nc_u64_e32 v[18:19], v[18:19], v[22:23]
	s_branch .LBB27_855
.LBB27_858:
	s_or_b32 exec_lo, exec_lo, s20
	v_add_min_u32_e64 v8, 0x80000001, v26, v26
	s_delay_alu instid0(VALU_DEP_1)
	v_add_min_u32_e64 v23, 0x80000001, v8, v8
.LBB27_859:
	s_or_b32 exec_lo, exec_lo, s17
	v_mov_b32_e32 v8, 0
	s_movk_i32 s9, 0x1388
	s_brev_b32 s8, 12
.LBB27_860:                             ; =>This Inner Loop Header: Depth=1
	v_mul_hi_u32 v22, 0xbc8f1391, v23
	s_delay_alu instid0(VALU_DEP_1) | instskip(NEXT) | instid1(VALU_DEP_1)
	v_dual_add_f32 v31, 1.0, v8 :: v_dual_lshrrev_b32 v22, 15, v22
	v_mul_u32_u24_e32 v24, 0xadc8, v22
	s_delay_alu instid0(VALU_DEP_1) | instskip(SKIP_1) | instid1(VALU_DEP_2)
	v_sub_nc_u32_e32 v23, v23, v24
	v_mul_u32_u24_e32 v22, 0xd47, v22
	v_mul_lo_u32 v23, 0xbc8f, v23
	s_delay_alu instid0(VALU_DEP_2) | instskip(SKIP_1) | instid1(VALU_DEP_3)
	v_xor_b32_e32 v24, 0x7fffffff, v22
	v_sub_nc_u32_e32 v25, 0, v22
	v_cmp_lt_u32_e32 vcc_lo, v23, v22
	s_delay_alu instid0(VALU_DEP_2) | instskip(NEXT) | instid1(VALU_DEP_1)
	v_cndmask_b32_e32 v22, v25, v24, vcc_lo
	v_add_nc_u32_e32 v22, v22, v23
	s_delay_alu instid0(VALU_DEP_1) | instskip(NEXT) | instid1(VALU_DEP_1)
	v_mul_hi_u32 v23, 0xbc8f1391, v22
	v_lshrrev_b32_e32 v23, 15, v23
	s_delay_alu instid0(VALU_DEP_1) | instskip(SKIP_1) | instid1(VALU_DEP_1)
	v_mul_u32_u24_e32 v24, 0xadc8, v23
	v_mul_u32_u24_e32 v23, 0xd47, v23
	v_dual_sub_nc_u32 v24, v22, v24 :: v_dual_sub_nc_u32 v26, 0, v23
	v_xor_b32_e32 v25, 0x7fffffff, v23
	v_add_nc_u32_e32 v22, -1, v22
	s_delay_alu instid0(VALU_DEP_3) | instskip(NEXT) | instid1(VALU_DEP_1)
	v_mul_lo_u32 v24, 0xbc8f, v24
	v_cmp_lt_u32_e32 vcc_lo, v24, v23
	s_delay_alu instid0(VALU_DEP_4) | instskip(NEXT) | instid1(VALU_DEP_1)
	v_cndmask_b32_e32 v23, v26, v25, vcc_lo
	v_add_nc_u32_e32 v23, v23, v24
	s_delay_alu instid0(VALU_DEP_1) | instskip(NEXT) | instid1(VALU_DEP_1)
	v_mul_hi_u32 v24, 0xbc8f1391, v23
	v_lshrrev_b32_e32 v24, 15, v24
	s_delay_alu instid0(VALU_DEP_1) | instskip(SKIP_1) | instid1(VALU_DEP_1)
	v_mul_u32_u24_e32 v25, 0xadc8, v24
	v_mul_u32_u24_e32 v24, 0xd47, v24
	v_dual_sub_nc_u32 v27, 0, v24 :: v_dual_sub_nc_u32 v25, v23, v25
	v_xor_b32_e32 v26, 0x7fffffff, v24
	v_add_nc_u32_e32 v23, -1, v23
	s_delay_alu instid0(VALU_DEP_3) | instskip(NEXT) | instid1(VALU_DEP_1)
	v_mul_lo_u32 v25, 0xbc8f, v25
	v_cmp_lt_u32_e32 vcc_lo, v25, v24
	s_delay_alu instid0(VALU_DEP_4) | instskip(NEXT) | instid1(VALU_DEP_1)
	v_cndmask_b32_e32 v24, v27, v26, vcc_lo
	v_add_nc_u32_e32 v26, v24, v25
	s_delay_alu instid0(VALU_DEP_1) | instskip(NEXT) | instid1(VALU_DEP_1)
	v_mul_hi_u32 v24, 0xbc8f1391, v26
	v_lshrrev_b32_e32 v24, 15, v24
	s_delay_alu instid0(VALU_DEP_1) | instskip(NEXT) | instid1(VALU_DEP_1)
	v_mul_u32_u24_e32 v25, 0xadc8, v24
	v_sub_nc_u32_e32 v25, v26, v25
	s_delay_alu instid0(VALU_DEP_1) | instskip(SKIP_2) | instid1(VALU_DEP_2)
	v_mul_lo_u32 v27, 0xbc8f, v25
	v_mul_u32_u24_e32 v25, 0xd47, v24
	v_cvt_f32_u32_e32 v24, v22
	v_xor_b32_e32 v22, 0x7fffffff, v25
	v_sub_nc_u32_e32 v32, 0, v25
	v_cmp_lt_u32_e32 vcc_lo, v27, v25
	v_cvt_f32_u32_e32 v25, v23
	s_delay_alu instid0(VALU_DEP_3) | instskip(NEXT) | instid1(VALU_DEP_2)
	v_cndmask_b32_e32 v22, v32, v22, vcc_lo
	v_pk_fma_f32 v[24:25], v[24:25], s[8:9], 0 op_sel_hi:[1,0,0]
	s_delay_alu instid0(VALU_DEP_2) | instskip(NEXT) | instid1(VALU_DEP_2)
	v_dual_add_nc_u32 v23, v22, v27 :: v_dual_add_nc_u32 v22, -1, v26
	v_pk_mul_f32 v[24:25], v[24:25], v[24:25]
	s_delay_alu instid0(VALU_DEP_2) | instskip(NEXT) | instid1(VALU_DEP_3)
	v_add_nc_u32_e32 v27, -1, v23
	v_cvt_f32_u32_e32 v26, v22
	s_delay_alu instid0(VALU_DEP_3) | instskip(NEXT) | instid1(VALU_DEP_3)
	v_add_f32_e32 v22, v24, v25
	v_cvt_f32_u32_e32 v27, v27
	s_delay_alu instid0(VALU_DEP_2) | instskip(NEXT) | instid1(VALU_DEP_2)
	v_cmp_gt_f32_e32 vcc_lo, 0xf800000, v22
	v_pk_fma_f32 v[24:25], v[26:27], s[8:9], 0 op_sel_hi:[1,0,0]
	v_mul_f32_e32 v26, 0x4f800000, v22
	s_add_co_i32 s9, s9, -2
	s_delay_alu instid0(SALU_CYCLE_1) | instskip(NEXT) | instid1(VALU_DEP_2)
	s_cmp_lg_u32 s9, 0
	v_pk_mul_f32 v[24:25], v[24:25], v[24:25]
	s_delay_alu instid0(VALU_DEP_1) | instskip(NEXT) | instid1(VALU_DEP_1)
	v_add_f32_e32 v24, v24, v25
	v_cmp_gt_f32_e64 s6, 0xf800000, v24
	v_cndmask_b32_e32 v22, v22, v26, vcc_lo
	v_mul_f32_e32 v26, 0x4f800000, v24
	s_delay_alu instid0(VALU_DEP_1) | instskip(NEXT) | instid1(VALU_DEP_3)
	v_cndmask_b32_e64 v24, v24, v26, s6
	v_sqrt_f32_e32 v25, v22
	s_delay_alu instid0(VALU_DEP_1) | instskip(NEXT) | instid1(TRANS32_DEP_2)
	v_sqrt_f32_e32 v33, v24
	v_dual_add_nc_u32 v27, -1, v25 :: v_dual_add_nc_u32 v26, 1, v25
	s_delay_alu instid0(VALU_DEP_1) | instskip(NEXT) | instid1(VALU_DEP_1)
	v_fma_f32 v32, -v27, v25, v22
	v_cmp_ge_f32_e64 s7, 0, v32
	s_delay_alu instid0(VALU_DEP_1) | instskip(NEXT) | instid1(VALU_DEP_1)
	v_dual_fma_f32 v34, -v26, v25, v22 :: v_dual_cndmask_b32 v25, v25, v27, s7
	v_cmp_lt_f32_e64 s7, 0, v34
	s_delay_alu instid0(TRANS32_DEP_1) | instid1(VALU_DEP_1)
	v_dual_add_nc_u32 v27, -1, v33 :: v_dual_cndmask_b32 v25, v25, v26, s7
	s_delay_alu instid0(VALU_DEP_1) | instskip(NEXT) | instid1(VALU_DEP_1)
	v_dual_add_nc_u32 v26, 1, v33 :: v_dual_fma_f32 v32, -v27, v33, v24
	v_fma_f32 v35, -v26, v33, v24
	s_delay_alu instid0(VALU_DEP_2) | instskip(NEXT) | instid1(VALU_DEP_1)
	v_cmp_ge_f32_e64 s7, 0, v32
	v_cndmask_b32_e64 v27, v33, v27, s7
	s_delay_alu instid0(VALU_DEP_3) | instskip(NEXT) | instid1(VALU_DEP_1)
	v_cmp_lt_f32_e64 s7, 0, v35
	v_cndmask_b32_e64 v26, v27, v26, s7
	v_mul_f32_e32 v34, 0x37800000, v25
	s_delay_alu instid0(VALU_DEP_1) | instskip(SKIP_1) | instid1(VALU_DEP_2)
	v_cndmask_b32_e32 v25, v25, v34, vcc_lo
	v_cmp_class_f32_e64 vcc_lo, v22, 0x260
	v_cndmask_b32_e32 v22, v25, v22, vcc_lo
	v_mul_f32_e32 v25, 0x37800000, v26
	s_delay_alu instid0(VALU_DEP_2) | instskip(NEXT) | instid1(VALU_DEP_2)
	v_cmp_nge_f32_e32 vcc_lo, 1.0, v22
	v_dual_cndmask_b32 v22, v26, v25, s6 :: v_dual_cndmask_b32 v8, v31, v8, vcc_lo
	v_cmp_class_f32_e64 vcc_lo, v24, 0x260
	s_delay_alu instid0(VALU_DEP_2) | instskip(NEXT) | instid1(VALU_DEP_3)
	v_add_f32_e32 v25, 1.0, v8
	v_cndmask_b32_e32 v22, v22, v24, vcc_lo
	s_delay_alu instid0(VALU_DEP_1) | instskip(NEXT) | instid1(VALU_DEP_3)
	v_cmp_nge_f32_e32 vcc_lo, 1.0, v22
	v_cndmask_b32_e32 v8, v25, v8, vcc_lo
	s_cbranch_scc1 .LBB27_860
; %bb.861:
	s_delay_alu instid0(VALU_DEP_1) | instskip(NEXT) | instid1(VALU_DEP_1)
	v_mul_f32_e32 v8, 4.0, v8
	v_div_scale_f32 v22, null, 0x459c4000, 0x459c4000, v8
	s_delay_alu instid0(VALU_DEP_1) | instskip(SKIP_1) | instid1(TRANS32_DEP_1)
	v_rcp_f32_e32 v23, v22
	v_nop
	v_fma_f32 v24, -v22, v23, 1.0
	s_delay_alu instid0(VALU_DEP_1) | instskip(SKIP_1) | instid1(VALU_DEP_1)
	v_fmac_f32_e32 v23, v24, v23
	v_div_scale_f32 v24, vcc_lo, v8, 0x459c4000, v8
	v_mul_f32_e32 v25, v24, v23
	s_delay_alu instid0(VALU_DEP_1) | instskip(NEXT) | instid1(VALU_DEP_1)
	v_fma_f32 v26, -v22, v25, v24
	v_fmac_f32_e32 v25, v26, v23
	s_delay_alu instid0(VALU_DEP_1) | instskip(NEXT) | instid1(VALU_DEP_1)
	v_fma_f32 v22, -v22, v25, v24
	v_div_fmas_f32 v22, v22, v23, v25
	s_delay_alu instid0(VALU_DEP_1)
	v_div_fixup_f32 v8, v22, 0x459c4000, v8
.LBB27_862:
	s_or_b32 exec_lo, exec_lo, s16
	v_add_nc_u32_e32 v22, 0x700, v50
	s_delay_alu instid0(VALU_DEP_1)
	v_cmp_lt_u32_e64 s6, v22, v29
	s_and_saveexec_b32 s20, s6
	s_cbranch_execz .LBB27_891
; %bb.863:
	v_dual_add_nc_u32 v9, v30, v22 :: v_dual_mov_b32 v23, 1
	s_mov_b32 s9, 0
	s_mov_b32 s7, exec_lo
	s_delay_alu instid0(VALU_DEP_1) | instskip(NEXT) | instid1(VALU_DEP_1)
	v_mul_lo_u32 v22, 0x1388, v9
	v_cmpx_ne_u32_e32 0, v22
	s_cbranch_execz .LBB27_888
; %bb.864:
	v_mov_b32_e32 v23, 0
	v_mov_b64_e32 v[26:27], 1
	s_mov_b64 s[16:17], 0xbc8f
	s_mov_b64 s[10:11], 0xfffffffd
	s_mov_b64 s[12:13], 0xffffffff
	v_mov_b64_e32 v[24:25], v[22:23]
	s_mov_b64 s[14:15], 0x80000001
	s_mov_b32 s21, 0
	s_branch .LBB27_866
.LBB27_865:                             ;   in Loop: Header=BB27_866 Depth=1
	s_or_b32 exec_lo, exec_lo, s8
	s_mul_u64 s[16:17], s[16:17], s[16:17]
	s_mov_b32 s23, s9
	s_and_b64 s[24:25], s[16:17], s[10:11]
	s_mov_b32 s8, s17
	s_mul_u64 s[26:27], s[24:25], 3
	s_mul_u64 s[42:43], s[8:9], 3
	s_mov_b32 s22, s27
	s_mul_u64 s[24:25], s[24:25], s[14:15]
	s_add_nc_u64 s[22:23], s[42:43], s[22:23]
	v_lshrrev_b64 v[32:33], 1, v[24:25]
	s_and_b64 s[42:43], s[22:23], s[12:13]
	s_mov_b32 s27, s9
	s_add_nc_u64 s[24:25], s[24:25], s[42:43]
	s_mov_b32 s45, s9
	s_mov_b32 s26, s23
	;; [unrolled: 1-line block ×3, first 2 shown]
	s_mul_u64 s[24:25], s[8:9], s[14:15]
	s_add_nc_u64 s[22:23], s[26:27], s[44:45]
	v_cmp_gt_u64_e32 vcc_lo, 2, v[24:25]
	s_add_nc_u64 s[22:23], s[24:25], s[22:23]
	v_mov_b64_e32 v[24:25], v[32:33]
	s_lshr_b64 s[22:23], s[22:23], 30
	s_delay_alu instid0(SALU_CYCLE_1)
	s_mul_u64 s[22:23], s[22:23], 0x7fffffff
	s_or_b32 s21, vcc_lo, s21
	s_sub_nc_u64 s[16:17], s[16:17], s[22:23]
	s_and_not1_b32 exec_lo, exec_lo, s21
	s_cbranch_execz .LBB27_887
.LBB27_866:                             ; =>This Inner Loop Header: Depth=1
	s_delay_alu instid0(VALU_DEP_1) | instskip(SKIP_1) | instid1(VALU_DEP_1)
	v_and_b32_e32 v9, 1, v24
	s_mov_b32 s8, exec_lo
	v_cmpx_eq_u32_e32 1, v9
	s_cbranch_execz .LBB27_865
; %bb.867:                              ;   in Loop: Header=BB27_866 Depth=1
	v_mul_u64_e32 v[26:27], s[16:17], v[26:27]
	s_delay_alu instid0(VALU_DEP_1) | instskip(NEXT) | instid1(VALU_DEP_1)
	v_mov_b32_e32 v22, v26
	v_mul_u64_e32 v[32:33], 5, v[22:23]
	s_delay_alu instid0(VALU_DEP_1) | instskip(NEXT) | instid1(VALU_DEP_1)
	v_mov_b32_e32 v22, v33
	v_mad_nc_u64_u32 v[32:33], v27, 5, v[22:23]
	s_delay_alu instid0(VALU_DEP_1) | instskip(NEXT) | instid1(VALU_DEP_1)
	v_dual_mov_b32 v22, v33 :: v_dual_mov_b32 v33, v23
	v_mad_nc_u64_u32 v[32:33], v26, 2, v[32:33]
	s_delay_alu instid0(VALU_DEP_1) | instskip(NEXT) | instid1(VALU_DEP_1)
	v_dual_mov_b32 v32, v33 :: v_dual_mov_b32 v33, v23
	v_add_nc_u64_e32 v[32:33], v[22:23], v[32:33]
	s_delay_alu instid0(VALU_DEP_1) | instskip(NEXT) | instid1(VALU_DEP_1)
	v_mad_nc_u64_u32 v[32:33], v27, 2, v[32:33]
	v_sub_nc_u64_e32 v[34:35], v[26:27], v[32:33]
	s_delay_alu instid0(VALU_DEP_1) | instskip(NEXT) | instid1(VALU_DEP_1)
	v_lshrrev_b64 v[34:35], 1, v[34:35]
	v_add_nc_u64_e32 v[32:33], v[34:35], v[32:33]
	s_delay_alu instid0(VALU_DEP_1) | instskip(NEXT) | instid1(VALU_DEP_1)
	v_lshrrev_b64 v[32:33], 30, v[32:33]
	v_mul_u64_e32 v[32:33], 0x7fffffff, v[32:33]
	s_delay_alu instid0(VALU_DEP_1)
	v_sub_nc_u64_e32 v[26:27], v[26:27], v[32:33]
	s_branch .LBB27_865
.LBB27_868:
	s_or_b32 exec_lo, exec_lo, s18
	v_add_min_u32_e64 v6, 0x80000001, v48, v48
	s_delay_alu instid0(VALU_DEP_1)
	v_add_min_u32_e64 v37, 0x80000001, v6, v6
.LBB27_869:
	s_or_b32 exec_lo, exec_lo, s17
	v_mov_b32_e32 v6, 0
	s_movk_i32 s9, 0x1388
	s_brev_b32 s8, 12
.LBB27_870:                             ; =>This Inner Loop Header: Depth=1
	v_mul_hi_u32 v36, 0xbc8f1391, v37
	s_delay_alu instid0(VALU_DEP_1) | instskip(NEXT) | instid1(VALU_DEP_1)
	v_dual_add_f32 v54, 1.0, v6 :: v_dual_lshrrev_b32 v36, 15, v36
	v_mul_u32_u24_e32 v38, 0xadc8, v36
	s_delay_alu instid0(VALU_DEP_1) | instskip(SKIP_1) | instid1(VALU_DEP_2)
	v_sub_nc_u32_e32 v37, v37, v38
	v_mul_u32_u24_e32 v36, 0xd47, v36
	v_mul_lo_u32 v37, 0xbc8f, v37
	s_delay_alu instid0(VALU_DEP_2) | instskip(SKIP_1) | instid1(VALU_DEP_3)
	v_xor_b32_e32 v38, 0x7fffffff, v36
	v_sub_nc_u32_e32 v39, 0, v36
	v_cmp_lt_u32_e32 vcc_lo, v37, v36
	s_delay_alu instid0(VALU_DEP_2) | instskip(NEXT) | instid1(VALU_DEP_1)
	v_cndmask_b32_e32 v36, v39, v38, vcc_lo
	v_add_nc_u32_e32 v36, v36, v37
	s_delay_alu instid0(VALU_DEP_1) | instskip(NEXT) | instid1(VALU_DEP_1)
	v_mul_hi_u32 v37, 0xbc8f1391, v36
	v_lshrrev_b32_e32 v37, 15, v37
	s_delay_alu instid0(VALU_DEP_1) | instskip(SKIP_1) | instid1(VALU_DEP_1)
	v_mul_u32_u24_e32 v38, 0xadc8, v37
	v_mul_u32_u24_e32 v37, 0xd47, v37
	v_dual_sub_nc_u32 v38, v36, v38 :: v_dual_sub_nc_u32 v48, 0, v37
	v_xor_b32_e32 v39, 0x7fffffff, v37
	v_add_nc_u32_e32 v36, -1, v36
	s_delay_alu instid0(VALU_DEP_3) | instskip(NEXT) | instid1(VALU_DEP_1)
	v_mul_lo_u32 v38, 0xbc8f, v38
	v_cmp_lt_u32_e32 vcc_lo, v38, v37
	s_delay_alu instid0(VALU_DEP_4) | instskip(NEXT) | instid1(VALU_DEP_1)
	v_cndmask_b32_e32 v37, v48, v39, vcc_lo
	v_add_nc_u32_e32 v37, v37, v38
	s_delay_alu instid0(VALU_DEP_1) | instskip(NEXT) | instid1(VALU_DEP_1)
	v_mul_hi_u32 v38, 0xbc8f1391, v37
	v_lshrrev_b32_e32 v38, 15, v38
	s_delay_alu instid0(VALU_DEP_1) | instskip(SKIP_1) | instid1(VALU_DEP_1)
	v_mul_u32_u24_e32 v39, 0xadc8, v38
	v_mul_u32_u24_e32 v38, 0xd47, v38
	v_dual_sub_nc_u32 v49, 0, v38 :: v_dual_sub_nc_u32 v39, v37, v39
	v_xor_b32_e32 v48, 0x7fffffff, v38
	v_add_nc_u32_e32 v37, -1, v37
	s_delay_alu instid0(VALU_DEP_3) | instskip(NEXT) | instid1(VALU_DEP_1)
	v_mul_lo_u32 v39, 0xbc8f, v39
	v_cmp_lt_u32_e32 vcc_lo, v39, v38
	s_delay_alu instid0(VALU_DEP_4) | instskip(NEXT) | instid1(VALU_DEP_1)
	v_cndmask_b32_e32 v38, v49, v48, vcc_lo
	v_add_nc_u32_e32 v48, v38, v39
	s_delay_alu instid0(VALU_DEP_1) | instskip(NEXT) | instid1(VALU_DEP_1)
	v_mul_hi_u32 v38, 0xbc8f1391, v48
	v_lshrrev_b32_e32 v38, 15, v38
	s_delay_alu instid0(VALU_DEP_1) | instskip(NEXT) | instid1(VALU_DEP_1)
	v_mul_u32_u24_e32 v39, 0xadc8, v38
	v_sub_nc_u32_e32 v39, v48, v39
	s_delay_alu instid0(VALU_DEP_1) | instskip(SKIP_2) | instid1(VALU_DEP_2)
	v_mul_lo_u32 v49, 0xbc8f, v39
	v_mul_u32_u24_e32 v39, 0xd47, v38
	v_cvt_f32_u32_e32 v38, v36
	v_xor_b32_e32 v36, 0x7fffffff, v39
	v_sub_nc_u32_e32 v55, 0, v39
	v_cmp_lt_u32_e32 vcc_lo, v49, v39
	v_cvt_f32_u32_e32 v39, v37
	s_delay_alu instid0(VALU_DEP_3) | instskip(NEXT) | instid1(VALU_DEP_2)
	v_cndmask_b32_e32 v36, v55, v36, vcc_lo
	v_pk_fma_f32 v[38:39], v[38:39], s[8:9], 0 op_sel_hi:[1,0,0]
	s_delay_alu instid0(VALU_DEP_2) | instskip(NEXT) | instid1(VALU_DEP_2)
	v_dual_add_nc_u32 v37, v36, v49 :: v_dual_add_nc_u32 v36, -1, v48
	v_pk_mul_f32 v[38:39], v[38:39], v[38:39]
	s_delay_alu instid0(VALU_DEP_2) | instskip(NEXT) | instid1(VALU_DEP_3)
	v_add_nc_u32_e32 v49, -1, v37
	v_cvt_f32_u32_e32 v48, v36
	s_delay_alu instid0(VALU_DEP_3) | instskip(NEXT) | instid1(VALU_DEP_3)
	v_add_f32_e32 v36, v38, v39
	v_cvt_f32_u32_e32 v49, v49
	s_delay_alu instid0(VALU_DEP_2) | instskip(NEXT) | instid1(VALU_DEP_2)
	v_cmp_gt_f32_e32 vcc_lo, 0xf800000, v36
	v_pk_fma_f32 v[38:39], v[48:49], s[8:9], 0 op_sel_hi:[1,0,0]
	v_mul_f32_e32 v48, 0x4f800000, v36
	s_add_co_i32 s9, s9, -2
	s_delay_alu instid0(SALU_CYCLE_1) | instskip(NEXT) | instid1(VALU_DEP_2)
	s_cmp_lg_u32 s9, 0
	v_pk_mul_f32 v[38:39], v[38:39], v[38:39]
	s_delay_alu instid0(VALU_DEP_1) | instskip(NEXT) | instid1(VALU_DEP_1)
	v_add_f32_e32 v38, v38, v39
	v_cmp_gt_f32_e64 s6, 0xf800000, v38
	v_cndmask_b32_e32 v36, v36, v48, vcc_lo
	v_mul_f32_e32 v48, 0x4f800000, v38
	s_delay_alu instid0(VALU_DEP_1) | instskip(NEXT) | instid1(VALU_DEP_3)
	v_cndmask_b32_e64 v38, v38, v48, s6
	v_sqrt_f32_e32 v39, v36
	s_delay_alu instid0(VALU_DEP_1) | instskip(NEXT) | instid1(TRANS32_DEP_2)
	v_sqrt_f32_e32 v64, v38
	v_dual_add_nc_u32 v49, -1, v39 :: v_dual_add_nc_u32 v48, 1, v39
	s_delay_alu instid0(VALU_DEP_1) | instskip(NEXT) | instid1(VALU_DEP_1)
	v_fma_f32 v55, -v49, v39, v36
	v_cmp_ge_f32_e64 s7, 0, v55
	s_delay_alu instid0(VALU_DEP_1) | instskip(NEXT) | instid1(VALU_DEP_1)
	v_dual_fma_f32 v65, -v48, v39, v36 :: v_dual_cndmask_b32 v39, v39, v49, s7
	v_cmp_lt_f32_e64 s7, 0, v65
	s_delay_alu instid0(TRANS32_DEP_1) | instskip(NEXT) | instid1(VALU_DEP_2)
	v_add_nc_u32_e32 v49, -1, v64
	v_cndmask_b32_e64 v39, v39, v48, s7
	s_delay_alu instid0(VALU_DEP_2) | instskip(NEXT) | instid1(VALU_DEP_1)
	v_dual_add_nc_u32 v48, 1, v64 :: v_dual_fma_f32 v55, -v49, v64, v38
	v_cmp_ge_f32_e64 s7, 0, v55
	s_delay_alu instid0(VALU_DEP_1) | instskip(NEXT) | instid1(VALU_DEP_4)
	v_cndmask_b32_e64 v49, v64, v49, s7
	v_mul_f32_e32 v65, 0x37800000, v39
	s_delay_alu instid0(VALU_DEP_1) | instskip(SKIP_1) | instid1(VALU_DEP_2)
	v_cndmask_b32_e32 v39, v39, v65, vcc_lo
	v_cmp_class_f32_e64 vcc_lo, v36, 0x260
	v_cndmask_b32_e32 v36, v39, v36, vcc_lo
	s_delay_alu instid0(VALU_DEP_1) | instskip(NEXT) | instid1(VALU_DEP_3)
	v_cmp_nge_f32_e32 vcc_lo, 1.0, v36
	v_dual_fma_f32 v66, -v48, v64, v38 :: v_dual_cndmask_b32 v6, v54, v6, vcc_lo
	s_delay_alu instid0(VALU_DEP_1) | instskip(SKIP_1) | instid1(VALU_DEP_2)
	v_cmp_lt_f32_e64 s7, 0, v66
	v_cmp_class_f32_e64 vcc_lo, v38, 0x260
	v_cndmask_b32_e64 v48, v49, v48, s7
	s_delay_alu instid0(VALU_DEP_1) | instskip(NEXT) | instid1(VALU_DEP_1)
	v_mul_f32_e32 v39, 0x37800000, v48
	v_dual_cndmask_b32 v36, v48, v39, s6 :: v_dual_add_f32 v39, 1.0, v6
	s_delay_alu instid0(VALU_DEP_1) | instskip(NEXT) | instid1(VALU_DEP_1)
	v_cndmask_b32_e32 v36, v36, v38, vcc_lo
	v_cmp_nge_f32_e32 vcc_lo, 1.0, v36
	s_delay_alu instid0(VALU_DEP_3)
	v_cndmask_b32_e32 v6, v39, v6, vcc_lo
	s_cbranch_scc1 .LBB27_870
; %bb.871:
	s_delay_alu instid0(VALU_DEP_1) | instskip(NEXT) | instid1(VALU_DEP_1)
	v_mul_f32_e32 v6, 4.0, v6
	v_div_scale_f32 v36, null, 0x459c4000, 0x459c4000, v6
	s_delay_alu instid0(VALU_DEP_1) | instskip(SKIP_1) | instid1(TRANS32_DEP_1)
	v_rcp_f32_e32 v37, v36
	v_nop
	v_fma_f32 v38, -v36, v37, 1.0
	s_delay_alu instid0(VALU_DEP_1) | instskip(SKIP_1) | instid1(VALU_DEP_1)
	v_fmac_f32_e32 v37, v38, v37
	v_div_scale_f32 v38, vcc_lo, v6, 0x459c4000, v6
	v_mul_f32_e32 v39, v38, v37
	s_delay_alu instid0(VALU_DEP_1) | instskip(NEXT) | instid1(VALU_DEP_1)
	v_fma_f32 v48, -v36, v39, v38
	v_fmac_f32_e32 v39, v48, v37
	s_delay_alu instid0(VALU_DEP_1) | instskip(NEXT) | instid1(VALU_DEP_1)
	v_fma_f32 v36, -v36, v39, v38
	v_div_fmas_f32 v36, v36, v37, v39
	s_delay_alu instid0(VALU_DEP_1)
	v_div_fixup_f32 v6, v36, 0x459c4000, v6
.LBB27_872:
	s_or_b32 exec_lo, exec_lo, s16
	v_add_nc_u32_e32 v36, 0x700, v50
	s_delay_alu instid0(VALU_DEP_1)
	v_cmp_lt_u32_e64 s6, v36, v52
	s_and_saveexec_b32 s18, s6
	s_cbranch_execz .LBB27_901
; %bb.873:
	v_dual_add_nc_u32 v7, v53, v36 :: v_dual_mov_b32 v37, 1
	s_mov_b32 s9, 0
	s_mov_b32 s7, exec_lo
	s_delay_alu instid0(VALU_DEP_1) | instskip(NEXT) | instid1(VALU_DEP_1)
	v_mul_lo_u32 v36, 0x1388, v7
	v_cmpx_ne_u32_e32 0, v36
	s_cbranch_execz .LBB27_898
; %bb.874:
	v_mov_b32_e32 v37, 0
	v_mov_b64_e32 v[48:49], 1
	s_mov_b64 s[16:17], 0xbc8f
	s_mov_b64 s[10:11], 0xfffffffd
	;; [unrolled: 1-line block ×3, first 2 shown]
	v_mov_b64_e32 v[38:39], v[36:37]
	s_mov_b64 s[14:15], 0x80000001
	s_mov_b32 s19, 0
	s_branch .LBB27_876
.LBB27_875:                             ;   in Loop: Header=BB27_876 Depth=1
	s_or_b32 exec_lo, exec_lo, s8
	s_mul_u64 s[16:17], s[16:17], s[16:17]
	s_mov_b32 s21, s9
	s_and_b64 s[22:23], s[16:17], s[10:11]
	s_mov_b32 s8, s17
	s_mul_u64 s[24:25], s[22:23], 3
	s_mul_u64 s[26:27], s[8:9], 3
	s_mov_b32 s20, s25
	s_mul_u64 s[22:23], s[22:23], s[14:15]
	s_add_nc_u64 s[20:21], s[26:27], s[20:21]
	v_lshrrev_b64 v[54:55], 1, v[38:39]
	s_and_b64 s[26:27], s[20:21], s[12:13]
	s_mov_b32 s25, s9
	s_add_nc_u64 s[22:23], s[22:23], s[26:27]
	s_mov_b32 s29, s9
	s_mov_b32 s24, s21
	;; [unrolled: 1-line block ×3, first 2 shown]
	s_mul_u64 s[22:23], s[8:9], s[14:15]
	s_add_nc_u64 s[20:21], s[24:25], s[28:29]
	v_cmp_gt_u64_e32 vcc_lo, 2, v[38:39]
	s_add_nc_u64 s[20:21], s[22:23], s[20:21]
	v_mov_b64_e32 v[38:39], v[54:55]
	s_lshr_b64 s[20:21], s[20:21], 30
	s_delay_alu instid0(SALU_CYCLE_1)
	s_mul_u64 s[20:21], s[20:21], 0x7fffffff
	s_or_b32 s19, vcc_lo, s19
	s_sub_nc_u64 s[16:17], s[16:17], s[20:21]
	s_and_not1_b32 exec_lo, exec_lo, s19
	s_cbranch_execz .LBB27_897
.LBB27_876:                             ; =>This Inner Loop Header: Depth=1
	s_delay_alu instid0(VALU_DEP_1) | instskip(SKIP_1) | instid1(VALU_DEP_1)
	v_and_b32_e32 v7, 1, v38
	s_mov_b32 s8, exec_lo
	v_cmpx_eq_u32_e32 1, v7
	s_cbranch_execz .LBB27_875
; %bb.877:                              ;   in Loop: Header=BB27_876 Depth=1
	v_mul_u64_e32 v[48:49], s[16:17], v[48:49]
	s_delay_alu instid0(VALU_DEP_1) | instskip(NEXT) | instid1(VALU_DEP_1)
	v_mov_b32_e32 v36, v48
	v_mul_u64_e32 v[54:55], 5, v[36:37]
	s_delay_alu instid0(VALU_DEP_1) | instskip(NEXT) | instid1(VALU_DEP_1)
	v_mov_b32_e32 v36, v55
	v_mad_nc_u64_u32 v[54:55], v49, 5, v[36:37]
	s_delay_alu instid0(VALU_DEP_1) | instskip(NEXT) | instid1(VALU_DEP_1)
	v_dual_mov_b32 v36, v55 :: v_dual_mov_b32 v55, v37
	v_mad_nc_u64_u32 v[54:55], v48, 2, v[54:55]
	s_delay_alu instid0(VALU_DEP_1) | instskip(NEXT) | instid1(VALU_DEP_1)
	v_dual_mov_b32 v54, v55 :: v_dual_mov_b32 v55, v37
	v_add_nc_u64_e32 v[54:55], v[36:37], v[54:55]
	s_delay_alu instid0(VALU_DEP_1) | instskip(NEXT) | instid1(VALU_DEP_1)
	v_mad_nc_u64_u32 v[54:55], v49, 2, v[54:55]
	v_sub_nc_u64_e32 v[64:65], v[48:49], v[54:55]
	s_delay_alu instid0(VALU_DEP_1) | instskip(NEXT) | instid1(VALU_DEP_1)
	v_lshrrev_b64 v[64:65], 1, v[64:65]
	v_add_nc_u64_e32 v[54:55], v[64:65], v[54:55]
	s_delay_alu instid0(VALU_DEP_1) | instskip(NEXT) | instid1(VALU_DEP_1)
	v_lshrrev_b64 v[54:55], 30, v[54:55]
	v_mul_u64_e32 v[54:55], 0x7fffffff, v[54:55]
	s_delay_alu instid0(VALU_DEP_1)
	v_sub_nc_u64_e32 v[48:49], v[48:49], v[54:55]
	s_branch .LBB27_875
.LBB27_878:
	s_or_b32 exec_lo, exec_lo, s23
	v_add_min_u32_e64 v7, 0x80000001, v18, v18
	s_delay_alu instid0(VALU_DEP_1)
	v_add_min_u32_e64 v15, 0x80000001, v7, v7
.LBB27_879:
	s_or_b32 exec_lo, exec_lo, s7
	v_mov_b32_e32 v7, 0
	s_movk_i32 s9, 0x1388
	s_brev_b32 s12, 12
.LBB27_880:                             ; =>This Inner Loop Header: Depth=1
	v_mul_hi_u32 v14, 0xbc8f1391, v15
	s_add_co_i32 s9, s9, -2
	s_delay_alu instid0(VALU_DEP_2) | instskip(SKIP_1) | instid1(VALU_DEP_2)
	v_add_f32_e32 v22, 1.0, v7
	s_cmp_lg_u32 s9, 0
	v_lshrrev_b32_e32 v14, 15, v14
	s_delay_alu instid0(VALU_DEP_1) | instskip(NEXT) | instid1(VALU_DEP_1)
	v_mul_u32_u24_e32 v16, 0xadc8, v14
	v_sub_nc_u32_e32 v15, v15, v16
	v_mul_u32_u24_e32 v14, 0xd47, v14
	s_delay_alu instid0(VALU_DEP_2) | instskip(NEXT) | instid1(VALU_DEP_2)
	v_mul_lo_u32 v15, 0xbc8f, v15
	v_xor_b32_e32 v16, 0x7fffffff, v14
	v_sub_nc_u32_e32 v17, 0, v14
	s_delay_alu instid0(VALU_DEP_3) | instskip(NEXT) | instid1(VALU_DEP_2)
	v_cmp_lt_u32_e32 vcc_lo, v15, v14
	v_cndmask_b32_e32 v14, v17, v16, vcc_lo
	s_delay_alu instid0(VALU_DEP_1) | instskip(NEXT) | instid1(VALU_DEP_1)
	v_add_nc_u32_e32 v14, v14, v15
	v_mul_hi_u32 v15, 0xbc8f1391, v14
	s_delay_alu instid0(VALU_DEP_1) | instskip(NEXT) | instid1(VALU_DEP_1)
	v_lshrrev_b32_e32 v15, 15, v15
	v_mul_u32_u24_e32 v16, 0xadc8, v15
	v_mul_u32_u24_e32 v15, 0xd47, v15
	s_delay_alu instid0(VALU_DEP_1) | instskip(SKIP_2) | instid1(VALU_DEP_3)
	v_dual_sub_nc_u32 v16, v14, v16 :: v_dual_sub_nc_u32 v18, 0, v15
	v_xor_b32_e32 v17, 0x7fffffff, v15
	v_add_nc_u32_e32 v14, -1, v14
	v_mul_lo_u32 v16, 0xbc8f, v16
	s_delay_alu instid0(VALU_DEP_1) | instskip(NEXT) | instid1(VALU_DEP_4)
	v_cmp_lt_u32_e32 vcc_lo, v16, v15
	v_cndmask_b32_e32 v15, v18, v17, vcc_lo
	s_delay_alu instid0(VALU_DEP_1) | instskip(NEXT) | instid1(VALU_DEP_1)
	v_add_nc_u32_e32 v15, v15, v16
	v_mul_hi_u32 v16, 0xbc8f1391, v15
	s_delay_alu instid0(VALU_DEP_1) | instskip(NEXT) | instid1(VALU_DEP_1)
	v_lshrrev_b32_e32 v16, 15, v16
	v_mul_u32_u24_e32 v17, 0xadc8, v16
	v_mul_u32_u24_e32 v16, 0xd47, v16
	s_delay_alu instid0(VALU_DEP_1) | instskip(SKIP_2) | instid1(VALU_DEP_3)
	v_dual_sub_nc_u32 v19, 0, v16 :: v_dual_sub_nc_u32 v17, v15, v17
	v_xor_b32_e32 v18, 0x7fffffff, v16
	v_add_nc_u32_e32 v15, -1, v15
	v_mul_lo_u32 v17, 0xbc8f, v17
	s_delay_alu instid0(VALU_DEP_1) | instskip(NEXT) | instid1(VALU_DEP_4)
	v_cmp_lt_u32_e32 vcc_lo, v17, v16
	v_cndmask_b32_e32 v16, v19, v18, vcc_lo
	s_delay_alu instid0(VALU_DEP_1) | instskip(NEXT) | instid1(VALU_DEP_1)
	v_add_nc_u32_e32 v18, v16, v17
	v_mul_hi_u32 v16, 0xbc8f1391, v18
	s_delay_alu instid0(VALU_DEP_1) | instskip(NEXT) | instid1(VALU_DEP_1)
	v_lshrrev_b32_e32 v16, 15, v16
	v_mul_u32_u24_e32 v17, 0xadc8, v16
	s_delay_alu instid0(VALU_DEP_1) | instskip(NEXT) | instid1(VALU_DEP_1)
	v_sub_nc_u32_e32 v17, v18, v17
	v_mul_lo_u32 v19, 0xbc8f, v17
	v_mul_u32_u24_e32 v17, 0xd47, v16
	v_cvt_f32_u32_e32 v16, v14
	s_delay_alu instid0(VALU_DEP_2) | instskip(SKIP_3) | instid1(VALU_DEP_3)
	v_xor_b32_e32 v14, 0x7fffffff, v17
	v_sub_nc_u32_e32 v23, 0, v17
	v_cmp_lt_u32_e32 vcc_lo, v19, v17
	v_cvt_f32_u32_e32 v17, v15
	v_cndmask_b32_e32 v14, v23, v14, vcc_lo
	s_delay_alu instid0(VALU_DEP_2) | instskip(NEXT) | instid1(VALU_DEP_2)
	v_pk_fma_f32 v[16:17], v[16:17], s[12:13], 0 op_sel_hi:[1,0,0]
	v_dual_add_nc_u32 v15, v14, v19 :: v_dual_add_nc_u32 v14, -1, v18
	s_delay_alu instid0(VALU_DEP_2) | instskip(NEXT) | instid1(VALU_DEP_2)
	v_pk_mul_f32 v[16:17], v[16:17], v[16:17]
	v_add_nc_u32_e32 v19, -1, v15
	s_delay_alu instid0(VALU_DEP_3) | instskip(NEXT) | instid1(VALU_DEP_3)
	v_cvt_f32_u32_e32 v18, v14
	v_add_f32_e32 v14, v16, v17
	s_delay_alu instid0(VALU_DEP_3) | instskip(NEXT) | instid1(VALU_DEP_2)
	v_cvt_f32_u32_e32 v19, v19
	v_cmp_gt_f32_e32 vcc_lo, 0xf800000, v14
	s_delay_alu instid0(VALU_DEP_2) | instskip(SKIP_1) | instid1(VALU_DEP_2)
	v_pk_fma_f32 v[16:17], v[18:19], s[12:13], 0 op_sel_hi:[1,0,0]
	v_mul_f32_e32 v18, 0x4f800000, v14
	v_pk_mul_f32 v[16:17], v[16:17], v[16:17]
	s_delay_alu instid0(VALU_DEP_1) | instskip(NEXT) | instid1(VALU_DEP_1)
	v_add_f32_e32 v16, v16, v17
	v_cmp_gt_f32_e64 s7, 0xf800000, v16
	s_delay_alu instid0(VALU_DEP_4) | instskip(SKIP_1) | instid1(VALU_DEP_1)
	v_cndmask_b32_e32 v14, v14, v18, vcc_lo
	v_mul_f32_e32 v18, 0x4f800000, v16
	v_cndmask_b32_e64 v16, v16, v18, s7
	s_delay_alu instid0(VALU_DEP_3) | instskip(NEXT) | instid1(VALU_DEP_1)
	v_sqrt_f32_e32 v17, v14
	v_sqrt_f32_e32 v24, v16
	s_delay_alu instid0(TRANS32_DEP_2) | instskip(NEXT) | instid1(VALU_DEP_1)
	v_dual_add_nc_u32 v19, -1, v17 :: v_dual_add_nc_u32 v18, 1, v17
	v_fma_f32 v23, -v19, v17, v14
	s_delay_alu instid0(VALU_DEP_1) | instskip(NEXT) | instid1(VALU_DEP_1)
	v_cmp_ge_f32_e64 s8, 0, v23
	v_dual_fma_f32 v25, -v18, v17, v14 :: v_dual_cndmask_b32 v17, v17, v19, s8
	s_delay_alu instid0(VALU_DEP_1)
	v_cmp_lt_f32_e64 s8, 0, v25
	s_delay_alu instid0(TRANS32_DEP_1) | instid1(VALU_DEP_1)
	v_dual_add_nc_u32 v19, -1, v24 :: v_dual_cndmask_b32 v17, v17, v18, s8
	s_delay_alu instid0(VALU_DEP_1) | instskip(NEXT) | instid1(VALU_DEP_2)
	v_dual_add_nc_u32 v18, 1, v24 :: v_dual_fma_f32 v23, -v19, v24, v16
	v_mul_f32_e32 v25, 0x37800000, v17
	s_delay_alu instid0(VALU_DEP_2) | instskip(NEXT) | instid1(VALU_DEP_3)
	v_fma_f32 v26, -v18, v24, v16
	v_cmp_ge_f32_e64 s8, 0, v23
	s_delay_alu instid0(VALU_DEP_3) | instskip(SKIP_1) | instid1(VALU_DEP_3)
	v_cndmask_b32_e32 v17, v17, v25, vcc_lo
	v_cmp_class_f32_e64 vcc_lo, v14, 0x260
	v_cndmask_b32_e64 v19, v24, v19, s8
	v_cmp_lt_f32_e64 s8, 0, v26
	s_delay_alu instid0(VALU_DEP_4) | instskip(NEXT) | instid1(VALU_DEP_1)
	v_cndmask_b32_e32 v14, v17, v14, vcc_lo
	v_cmp_nge_f32_e32 vcc_lo, 1.0, v14
	s_delay_alu instid0(VALU_DEP_3) | instskip(SKIP_1) | instid1(VALU_DEP_2)
	v_dual_cndmask_b32 v18, v19, v18, s8 :: v_dual_cndmask_b32 v7, v22, v7, vcc_lo
	v_cmp_class_f32_e64 vcc_lo, v16, 0x260
	v_mul_f32_e32 v17, 0x37800000, v18
	s_delay_alu instid0(VALU_DEP_1) | instskip(NEXT) | instid1(VALU_DEP_1)
	v_dual_cndmask_b32 v14, v18, v17, s7 :: v_dual_add_f32 v17, 1.0, v7
	v_cndmask_b32_e32 v14, v14, v16, vcc_lo
	s_delay_alu instid0(VALU_DEP_1) | instskip(NEXT) | instid1(VALU_DEP_3)
	v_cmp_nge_f32_e32 vcc_lo, 1.0, v14
	v_cndmask_b32_e32 v7, v17, v7, vcc_lo
	s_cbranch_scc1 .LBB27_880
; %bb.881:
	s_delay_alu instid0(VALU_DEP_1) | instskip(NEXT) | instid1(VALU_DEP_1)
	v_mul_f32_e32 v7, 4.0, v7
	v_div_scale_f32 v14, null, 0x459c4000, 0x459c4000, v7
	s_delay_alu instid0(VALU_DEP_1) | instskip(SKIP_1) | instid1(TRANS32_DEP_1)
	v_rcp_f32_e32 v15, v14
	v_nop
	v_fma_f32 v16, -v14, v15, 1.0
	s_delay_alu instid0(VALU_DEP_1) | instskip(SKIP_1) | instid1(VALU_DEP_1)
	v_fmac_f32_e32 v15, v16, v15
	v_div_scale_f32 v16, vcc_lo, v7, 0x459c4000, v7
	v_mul_f32_e32 v17, v16, v15
	s_delay_alu instid0(VALU_DEP_1) | instskip(NEXT) | instid1(VALU_DEP_1)
	v_fma_f32 v18, -v14, v17, v16
	v_fmac_f32_e32 v17, v18, v15
	s_delay_alu instid0(VALU_DEP_1) | instskip(NEXT) | instid1(VALU_DEP_1)
	v_fma_f32 v14, -v14, v17, v16
	v_div_fmas_f32 v14, v14, v15, v17
	s_delay_alu instid0(VALU_DEP_1)
	v_div_fixup_f32 v7, v14, 0x459c4000, v7
.LBB27_882:
	s_or_b32 exec_lo, exec_lo, s22
	v_add_f32_e32 v3, v2, v3
	s_delay_alu instid0(VALU_DEP_1) | instskip(NEXT) | instid1(VALU_DEP_1)
	v_cndmask_b32_e64 v2, v2, v3, s0
	v_add_f32_e32 v3, v4, v2
	s_delay_alu instid0(VALU_DEP_1) | instskip(NEXT) | instid1(VALU_DEP_1)
	v_cndmask_b32_e64 v2, v2, v3, s1
	;; [unrolled: 3-line block ×3, first 2 shown]
	v_add_f32_e32 v3, v6, v2
	v_and_b32_e32 v6, 0x3e0, v50
	s_delay_alu instid0(VALU_DEP_2) | instskip(NEXT) | instid1(VALU_DEP_1)
	v_cndmask_b32_e64 v2, v2, v3, s3
	v_add_f32_e32 v3, v9, v2
	s_delay_alu instid0(VALU_DEP_1) | instskip(SKIP_1) | instid1(VALU_DEP_2)
	v_cndmask_b32_e64 v3, v2, v3, s4
	v_mbcnt_lo_u32_b32 v2, -1, 0
	v_add_f32_e32 v4, v8, v3
	s_delay_alu instid0(VALU_DEP_2) | instskip(SKIP_2) | instid1(VALU_DEP_4)
	v_cmp_ne_u32_e32 vcc_lo, 31, v2
	v_add_nc_u32_e32 v8, 1, v2
	v_cmp_gt_u32_e64 s0, 28, v2
	v_dual_add_nc_u32 v9, 2, v2 :: v_dual_cndmask_b32 v3, v3, v4, s5
	v_add_co_ci_u32_e64 v4, null, 0, v2, vcc_lo
	v_cmp_gt_u32_e32 vcc_lo, 30, v2
	s_delay_alu instid0(VALU_DEP_2) | instskip(SKIP_1) | instid1(VALU_DEP_2)
	v_dual_add_f32 v5, v7, v3 :: v_dual_lshlrev_b32 v4, 2, v4
	v_cndmask_b32_e64 v7, 0, 2, vcc_lo
	v_cndmask_b32_e64 v3, v3, v5, s6
	s_delay_alu instid0(VALU_DEP_2) | instskip(SKIP_2) | instid1(VALU_DEP_1)
	v_add_lshl_u32 v7, v7, v2, 2
	ds_bpermute_b32 v5, v4, v3
	v_min_u32_e32 v4, 0x100, v21
	v_sub_nc_u32_e64 v6, v4, v6 clamp
	s_delay_alu instid0(VALU_DEP_1) | instskip(SKIP_3) | instid1(VALU_DEP_3)
	v_cmp_lt_u32_e32 vcc_lo, v8, v6
	v_cndmask_b32_e64 v8, 0, 4, s0
	v_cmp_lt_u32_e64 s0, v9, v6
	v_add_nc_u32_e32 v9, 4, v2
	v_add_lshl_u32 v8, v8, v2, 2
	s_wait_dscnt 0x0
	v_add_f32_e32 v5, v3, v5
	s_delay_alu instid0(VALU_DEP_1) | instskip(SKIP_3) | instid1(VALU_DEP_1)
	v_cndmask_b32_e32 v5, v3, v5, vcc_lo
	ds_bpermute_b32 v7, v7, v5
	s_wait_dscnt 0x0
	v_add_f32_e32 v7, v5, v7
	v_cndmask_b32_e64 v5, v5, v7, s0
	v_cmp_gt_u32_e64 s0, 24, v2
	ds_bpermute_b32 v7, v8, v5
	v_cndmask_b32_e64 v8, 0, 8, s0
	v_cmp_lt_u32_e64 s0, v9, v6
	v_add_nc_u32_e32 v9, 8, v2
	s_delay_alu instid0(VALU_DEP_3) | instskip(SKIP_2) | instid1(VALU_DEP_1)
	v_add_lshl_u32 v8, v8, v2, 2
	s_wait_dscnt 0x0
	v_add_f32_e32 v7, v5, v7
	v_dual_cndmask_b32 v7, v5, v7, s0 :: v_dual_lshlrev_b32 v5, 2, v2
	v_cmp_lt_u32_e64 s0, v9, v6
	v_add_nc_u32_e32 v9, 16, v2
	ds_bpermute_b32 v8, v8, v7
	s_wait_dscnt 0x0
	v_dual_add_f32 v8, v7, v8 :: v_dual_bitop2_b32 v14, 64, v5 bitop3:0x54
	s_delay_alu instid0(VALU_DEP_1) | instskip(SKIP_4) | instid1(VALU_DEP_1)
	v_cndmask_b32_e64 v7, v7, v8, s0
	v_cmp_lt_u32_e64 s0, v9, v6
	ds_bpermute_b32 v8, v14, v7
	s_wait_dscnt 0x0
	v_add_f32_e32 v8, v7, v8
	v_cndmask_b32_e64 v6, v7, v8, s0
	s_mov_b32 s0, exec_lo
	s_delay_alu instid0(VALU_DEP_1)
	v_cndmask_b32_e32 v3, v3, v6, vcc_lo
	v_cmpx_eq_u32_e32 0, v2
; %bb.883:
	v_lshrrev_b32_e32 v6, 3, v50
	s_delay_alu instid0(VALU_DEP_1)
	v_and_b32_e32 v6, 0x7c, v6
	ds_store_b32 v6, v3 offset:192
; %bb.884:
	s_or_b32 exec_lo, exec_lo, s0
	s_delay_alu instid0(SALU_CYCLE_1)
	s_mov_b32 s1, exec_lo
	s_wait_storecnt 0x0
	s_wait_loadcnt_dscnt 0x0
	s_barrier_signal -1
	s_barrier_wait -1
	v_cmpx_gt_u32_e32 8, v50
	s_cbranch_execz .LBB27_886
; %bb.885:
	ds_load_b32 v3, v5 offset:192
	v_and_b32_e32 v6, 7, v2
	v_or_b32_e32 v5, 16, v5
	s_delay_alu instid0(VALU_DEP_2) | instskip(SKIP_1) | instid1(VALU_DEP_1)
	v_cmp_ne_u32_e32 vcc_lo, 7, v6
	v_add_co_ci_u32_e64 v7, null, 0, v2, vcc_lo
	v_dual_lshlrev_b32 v7, 2, v7 :: v_dual_add_nc_u32 v4, 31, v4
	v_add_nc_u32_e32 v9, 1, v6
	v_cmp_gt_u32_e32 vcc_lo, 6, v6
	s_wait_dscnt 0x0
	ds_bpermute_b32 v7, v7, v3
	v_lshrrev_b32_e32 v4, 5, v4
	v_cndmask_b32_e64 v8, 0, 2, vcc_lo
	s_delay_alu instid0(VALU_DEP_1) | instskip(SKIP_3) | instid1(VALU_DEP_2)
	v_add_lshl_u32 v2, v8, v2, 2
	s_wait_dscnt 0x0
	v_dual_add_f32 v7, v3, v7 :: v_dual_add_nc_u32 v8, 2, v6
	v_cmp_lt_u32_e32 vcc_lo, v9, v4
	v_cmp_lt_u32_e64 s0, v8, v4
	s_delay_alu instid0(VALU_DEP_3) | instskip(SKIP_3) | instid1(VALU_DEP_1)
	v_cndmask_b32_e32 v7, v3, v7, vcc_lo
	ds_bpermute_b32 v2, v2, v7
	s_wait_dscnt 0x0
	v_add_f32_e32 v2, v7, v2
	v_cndmask_b32_e64 v2, v7, v2, s0
	ds_bpermute_b32 v5, v5, v2
	s_wait_dscnt 0x0
	v_dual_add_f32 v5, v2, v5 :: v_dual_add_nc_u32 v6, 4, v6
	s_delay_alu instid0(VALU_DEP_1) | instskip(NEXT) | instid1(VALU_DEP_1)
	v_cmp_lt_u32_e64 s0, v6, v4
	v_cndmask_b32_e64 v2, v2, v5, s0
	s_delay_alu instid0(VALU_DEP_1)
	v_cndmask_b32_e32 v3, v3, v2, vcc_lo
.LBB27_886:
	s_or_b32 exec_lo, exec_lo, s1
	s_delay_alu instid0(SALU_CYCLE_1)
	s_or_b32 exec_lo, exec_lo, s21
	v_cmp_eq_u32_e32 vcc_lo, 0, v50
	s_and_b32 exec_lo, exec_lo, vcc_lo
	s_cbranch_execnz .LBB27_19
	s_branch .LBB27_20
.LBB27_887:
	s_or_b32 exec_lo, exec_lo, s21
	v_add_min_u32_e64 v9, 0x80000001, v26, v26
	s_delay_alu instid0(VALU_DEP_1)
	v_add_min_u32_e64 v23, 0x80000001, v9, v9
.LBB27_888:
	s_or_b32 exec_lo, exec_lo, s7
	v_mov_b32_e32 v9, 0
	s_movk_i32 s9, 0x1388
	s_brev_b32 s10, 12
.LBB27_889:                             ; =>This Inner Loop Header: Depth=1
	v_mul_hi_u32 v22, 0xbc8f1391, v23
	s_add_co_i32 s9, s9, -2
	s_delay_alu instid0(VALU_DEP_2) | instskip(SKIP_1) | instid1(VALU_DEP_2)
	v_add_f32_e32 v31, 1.0, v9
	s_cmp_lg_u32 s9, 0
	v_lshrrev_b32_e32 v22, 15, v22
	s_delay_alu instid0(VALU_DEP_1) | instskip(NEXT) | instid1(VALU_DEP_1)
	v_mul_u32_u24_e32 v24, 0xadc8, v22
	v_sub_nc_u32_e32 v23, v23, v24
	v_mul_u32_u24_e32 v22, 0xd47, v22
	s_delay_alu instid0(VALU_DEP_2) | instskip(NEXT) | instid1(VALU_DEP_2)
	v_mul_lo_u32 v23, 0xbc8f, v23
	v_xor_b32_e32 v24, 0x7fffffff, v22
	v_sub_nc_u32_e32 v25, 0, v22
	s_delay_alu instid0(VALU_DEP_3) | instskip(NEXT) | instid1(VALU_DEP_2)
	v_cmp_lt_u32_e32 vcc_lo, v23, v22
	v_cndmask_b32_e32 v22, v25, v24, vcc_lo
	s_delay_alu instid0(VALU_DEP_1) | instskip(NEXT) | instid1(VALU_DEP_1)
	v_add_nc_u32_e32 v22, v22, v23
	v_mul_hi_u32 v23, 0xbc8f1391, v22
	s_delay_alu instid0(VALU_DEP_1) | instskip(NEXT) | instid1(VALU_DEP_1)
	v_lshrrev_b32_e32 v23, 15, v23
	v_mul_u32_u24_e32 v24, 0xadc8, v23
	v_mul_u32_u24_e32 v23, 0xd47, v23
	s_delay_alu instid0(VALU_DEP_1) | instskip(SKIP_2) | instid1(VALU_DEP_3)
	v_dual_sub_nc_u32 v24, v22, v24 :: v_dual_sub_nc_u32 v26, 0, v23
	v_xor_b32_e32 v25, 0x7fffffff, v23
	v_add_nc_u32_e32 v22, -1, v22
	v_mul_lo_u32 v24, 0xbc8f, v24
	s_delay_alu instid0(VALU_DEP_1) | instskip(NEXT) | instid1(VALU_DEP_4)
	v_cmp_lt_u32_e32 vcc_lo, v24, v23
	v_cndmask_b32_e32 v23, v26, v25, vcc_lo
	s_delay_alu instid0(VALU_DEP_1) | instskip(NEXT) | instid1(VALU_DEP_1)
	v_add_nc_u32_e32 v23, v23, v24
	v_mul_hi_u32 v24, 0xbc8f1391, v23
	s_delay_alu instid0(VALU_DEP_1) | instskip(NEXT) | instid1(VALU_DEP_1)
	v_lshrrev_b32_e32 v24, 15, v24
	v_mul_u32_u24_e32 v25, 0xadc8, v24
	v_mul_u32_u24_e32 v24, 0xd47, v24
	s_delay_alu instid0(VALU_DEP_1) | instskip(SKIP_2) | instid1(VALU_DEP_3)
	v_dual_sub_nc_u32 v27, 0, v24 :: v_dual_sub_nc_u32 v25, v23, v25
	v_xor_b32_e32 v26, 0x7fffffff, v24
	v_add_nc_u32_e32 v23, -1, v23
	v_mul_lo_u32 v25, 0xbc8f, v25
	s_delay_alu instid0(VALU_DEP_1) | instskip(NEXT) | instid1(VALU_DEP_4)
	v_cmp_lt_u32_e32 vcc_lo, v25, v24
	v_cndmask_b32_e32 v24, v27, v26, vcc_lo
	s_delay_alu instid0(VALU_DEP_1) | instskip(NEXT) | instid1(VALU_DEP_1)
	v_add_nc_u32_e32 v26, v24, v25
	v_mul_hi_u32 v24, 0xbc8f1391, v26
	s_delay_alu instid0(VALU_DEP_1) | instskip(NEXT) | instid1(VALU_DEP_1)
	v_lshrrev_b32_e32 v24, 15, v24
	v_mul_u32_u24_e32 v25, 0xadc8, v24
	s_delay_alu instid0(VALU_DEP_1) | instskip(NEXT) | instid1(VALU_DEP_1)
	v_sub_nc_u32_e32 v25, v26, v25
	v_mul_lo_u32 v27, 0xbc8f, v25
	v_mul_u32_u24_e32 v25, 0xd47, v24
	v_cvt_f32_u32_e32 v24, v22
	s_delay_alu instid0(VALU_DEP_2) | instskip(SKIP_3) | instid1(VALU_DEP_3)
	v_xor_b32_e32 v22, 0x7fffffff, v25
	v_sub_nc_u32_e32 v32, 0, v25
	v_cmp_lt_u32_e32 vcc_lo, v27, v25
	v_cvt_f32_u32_e32 v25, v23
	v_cndmask_b32_e32 v22, v32, v22, vcc_lo
	s_delay_alu instid0(VALU_DEP_2) | instskip(NEXT) | instid1(VALU_DEP_2)
	v_pk_fma_f32 v[24:25], v[24:25], s[10:11], 0 op_sel_hi:[1,0,0]
	v_dual_add_nc_u32 v23, v22, v27 :: v_dual_add_nc_u32 v22, -1, v26
	s_delay_alu instid0(VALU_DEP_2) | instskip(NEXT) | instid1(VALU_DEP_2)
	v_pk_mul_f32 v[24:25], v[24:25], v[24:25]
	v_add_nc_u32_e32 v27, -1, v23
	s_delay_alu instid0(VALU_DEP_3) | instskip(NEXT) | instid1(VALU_DEP_3)
	v_cvt_f32_u32_e32 v26, v22
	v_add_f32_e32 v22, v24, v25
	s_delay_alu instid0(VALU_DEP_3) | instskip(NEXT) | instid1(VALU_DEP_2)
	v_cvt_f32_u32_e32 v27, v27
	v_cmp_gt_f32_e32 vcc_lo, 0xf800000, v22
	s_delay_alu instid0(VALU_DEP_2) | instskip(SKIP_1) | instid1(VALU_DEP_2)
	v_pk_fma_f32 v[24:25], v[26:27], s[10:11], 0 op_sel_hi:[1,0,0]
	v_mul_f32_e32 v26, 0x4f800000, v22
	v_pk_mul_f32 v[24:25], v[24:25], v[24:25]
	s_delay_alu instid0(VALU_DEP_1) | instskip(NEXT) | instid1(VALU_DEP_1)
	v_add_f32_e32 v24, v24, v25
	v_cmp_gt_f32_e64 s7, 0xf800000, v24
	s_delay_alu instid0(VALU_DEP_4) | instskip(SKIP_1) | instid1(VALU_DEP_1)
	v_cndmask_b32_e32 v22, v22, v26, vcc_lo
	v_mul_f32_e32 v26, 0x4f800000, v24
	v_cndmask_b32_e64 v24, v24, v26, s7
	s_delay_alu instid0(VALU_DEP_3) | instskip(NEXT) | instid1(VALU_DEP_1)
	v_sqrt_f32_e32 v25, v22
	v_sqrt_f32_e32 v33, v24
	s_delay_alu instid0(TRANS32_DEP_2) | instskip(NEXT) | instid1(VALU_DEP_1)
	v_dual_add_nc_u32 v27, -1, v25 :: v_dual_add_nc_u32 v26, 1, v25
	v_fma_f32 v32, -v27, v25, v22
	s_delay_alu instid0(VALU_DEP_1) | instskip(NEXT) | instid1(VALU_DEP_1)
	v_cmp_ge_f32_e64 s8, 0, v32
	v_dual_fma_f32 v34, -v26, v25, v22 :: v_dual_cndmask_b32 v25, v25, v27, s8
	s_delay_alu instid0(VALU_DEP_1)
	v_cmp_lt_f32_e64 s8, 0, v34
	s_delay_alu instid0(TRANS32_DEP_1) | instid1(VALU_DEP_1)
	v_dual_add_nc_u32 v27, -1, v33 :: v_dual_cndmask_b32 v25, v25, v26, s8
	s_delay_alu instid0(VALU_DEP_1) | instskip(NEXT) | instid1(VALU_DEP_1)
	v_dual_add_nc_u32 v26, 1, v33 :: v_dual_fma_f32 v32, -v27, v33, v24
	v_fma_f32 v35, -v26, v33, v24
	s_delay_alu instid0(VALU_DEP_2) | instskip(NEXT) | instid1(VALU_DEP_1)
	v_cmp_ge_f32_e64 s8, 0, v32
	v_cndmask_b32_e64 v27, v33, v27, s8
	s_delay_alu instid0(VALU_DEP_3) | instskip(NEXT) | instid1(VALU_DEP_1)
	v_cmp_lt_f32_e64 s8, 0, v35
	v_cndmask_b32_e64 v26, v27, v26, s8
	v_mul_f32_e32 v34, 0x37800000, v25
	s_delay_alu instid0(VALU_DEP_1) | instskip(SKIP_1) | instid1(VALU_DEP_2)
	v_cndmask_b32_e32 v25, v25, v34, vcc_lo
	v_cmp_class_f32_e64 vcc_lo, v22, 0x260
	v_cndmask_b32_e32 v22, v25, v22, vcc_lo
	v_mul_f32_e32 v25, 0x37800000, v26
	s_delay_alu instid0(VALU_DEP_2) | instskip(NEXT) | instid1(VALU_DEP_2)
	v_cmp_nge_f32_e32 vcc_lo, 1.0, v22
	v_cndmask_b32_e64 v22, v26, v25, s7
	v_cndmask_b32_e32 v9, v31, v9, vcc_lo
	v_cmp_class_f32_e64 vcc_lo, v24, 0x260
	s_delay_alu instid0(VALU_DEP_2) | instskip(NEXT) | instid1(VALU_DEP_1)
	v_dual_add_f32 v25, 1.0, v9 :: v_dual_cndmask_b32 v22, v22, v24
	v_cmp_nge_f32_e32 vcc_lo, 1.0, v22
	s_delay_alu instid0(VALU_DEP_2)
	v_cndmask_b32_e32 v9, v25, v9, vcc_lo
	s_cbranch_scc1 .LBB27_889
; %bb.890:
	s_delay_alu instid0(VALU_DEP_1) | instskip(NEXT) | instid1(VALU_DEP_1)
	v_mul_f32_e32 v9, 4.0, v9
	v_div_scale_f32 v22, null, 0x459c4000, 0x459c4000, v9
	s_delay_alu instid0(VALU_DEP_1) | instskip(SKIP_1) | instid1(TRANS32_DEP_1)
	v_rcp_f32_e32 v23, v22
	v_nop
	v_fma_f32 v24, -v22, v23, 1.0
	s_delay_alu instid0(VALU_DEP_1) | instskip(SKIP_1) | instid1(VALU_DEP_1)
	v_fmac_f32_e32 v23, v24, v23
	v_div_scale_f32 v24, vcc_lo, v9, 0x459c4000, v9
	v_mul_f32_e32 v25, v24, v23
	s_delay_alu instid0(VALU_DEP_1) | instskip(NEXT) | instid1(VALU_DEP_1)
	v_fma_f32 v26, -v22, v25, v24
	v_fmac_f32_e32 v25, v26, v23
	s_delay_alu instid0(VALU_DEP_1) | instskip(NEXT) | instid1(VALU_DEP_1)
	v_fma_f32 v22, -v22, v25, v24
	v_div_fmas_f32 v22, v22, v23, v25
	s_delay_alu instid0(VALU_DEP_1)
	v_div_fixup_f32 v9, v22, 0x459c4000, v9
.LBB27_891:
	s_or_b32 exec_lo, exec_lo, s20
	v_or_b32_e32 v22, 0x800, v50
	s_delay_alu instid0(VALU_DEP_1)
	v_cmp_lt_u32_e64 s7, v22, v29
	s_and_saveexec_b32 s20, s7
	s_cbranch_execz .LBB27_911
; %bb.892:
	v_dual_mov_b32 v23, 1 :: v_dual_add_nc_u32 v10, v30, v22
	s_mov_b32 s9, 0
	s_mov_b32 s21, exec_lo
	s_delay_alu instid0(VALU_DEP_1) | instskip(NEXT) | instid1(VALU_DEP_1)
	v_mul_lo_u32 v22, 0x1388, v10
	v_cmpx_ne_u32_e32 0, v22
	s_cbranch_execz .LBB27_908
; %bb.893:
	v_mov_b32_e32 v23, 0
	v_mov_b64_e32 v[26:27], 1
	s_mov_b64 s[16:17], 0xbc8f
	s_mov_b64 s[10:11], 0xfffffffd
	;; [unrolled: 1-line block ×3, first 2 shown]
	v_mov_b64_e32 v[24:25], v[22:23]
	s_mov_b64 s[14:15], 0x80000001
	s_mov_b32 s22, 0
	s_branch .LBB27_895
.LBB27_894:                             ;   in Loop: Header=BB27_895 Depth=1
	s_or_b32 exec_lo, exec_lo, s8
	s_mul_u64 s[16:17], s[16:17], s[16:17]
	s_mov_b32 s25, s9
	s_and_b64 s[26:27], s[16:17], s[10:11]
	s_mov_b32 s8, s17
	s_mul_u64 s[42:43], s[26:27], 3
	s_mul_u64 s[44:45], s[8:9], 3
	s_mov_b32 s24, s43
	s_mul_u64 s[26:27], s[26:27], s[14:15]
	s_add_nc_u64 s[24:25], s[44:45], s[24:25]
	v_lshrrev_b64 v[32:33], 1, v[24:25]
	s_and_b64 s[44:45], s[24:25], s[12:13]
	s_mov_b32 s43, s9
	s_add_nc_u64 s[26:27], s[26:27], s[44:45]
	s_mov_b32 s47, s9
	s_mov_b32 s42, s25
	;; [unrolled: 1-line block ×3, first 2 shown]
	s_mul_u64 s[26:27], s[8:9], s[14:15]
	s_add_nc_u64 s[24:25], s[42:43], s[46:47]
	v_cmp_gt_u64_e32 vcc_lo, 2, v[24:25]
	s_add_nc_u64 s[24:25], s[26:27], s[24:25]
	v_mov_b64_e32 v[24:25], v[32:33]
	s_lshr_b64 s[24:25], s[24:25], 30
	s_delay_alu instid0(SALU_CYCLE_1)
	s_mul_u64 s[24:25], s[24:25], 0x7fffffff
	s_or_b32 s22, vcc_lo, s22
	s_sub_nc_u64 s[16:17], s[16:17], s[24:25]
	s_and_not1_b32 exec_lo, exec_lo, s22
	s_cbranch_execz .LBB27_907
.LBB27_895:                             ; =>This Inner Loop Header: Depth=1
	s_delay_alu instid0(VALU_DEP_1) | instskip(SKIP_1) | instid1(VALU_DEP_1)
	v_and_b32_e32 v10, 1, v24
	s_mov_b32 s8, exec_lo
	v_cmpx_eq_u32_e32 1, v10
	s_cbranch_execz .LBB27_894
; %bb.896:                              ;   in Loop: Header=BB27_895 Depth=1
	v_mul_u64_e32 v[26:27], s[16:17], v[26:27]
	s_delay_alu instid0(VALU_DEP_1) | instskip(NEXT) | instid1(VALU_DEP_1)
	v_mov_b32_e32 v22, v26
	v_mul_u64_e32 v[32:33], 5, v[22:23]
	s_delay_alu instid0(VALU_DEP_1) | instskip(NEXT) | instid1(VALU_DEP_1)
	v_mov_b32_e32 v22, v33
	v_mad_nc_u64_u32 v[32:33], v27, 5, v[22:23]
	s_delay_alu instid0(VALU_DEP_1) | instskip(NEXT) | instid1(VALU_DEP_1)
	v_dual_mov_b32 v22, v33 :: v_dual_mov_b32 v33, v23
	v_mad_nc_u64_u32 v[32:33], v26, 2, v[32:33]
	s_delay_alu instid0(VALU_DEP_1) | instskip(NEXT) | instid1(VALU_DEP_1)
	v_dual_mov_b32 v32, v33 :: v_dual_mov_b32 v33, v23
	v_add_nc_u64_e32 v[32:33], v[22:23], v[32:33]
	s_delay_alu instid0(VALU_DEP_1) | instskip(NEXT) | instid1(VALU_DEP_1)
	v_mad_nc_u64_u32 v[32:33], v27, 2, v[32:33]
	v_sub_nc_u64_e32 v[34:35], v[26:27], v[32:33]
	s_delay_alu instid0(VALU_DEP_1) | instskip(NEXT) | instid1(VALU_DEP_1)
	v_lshrrev_b64 v[34:35], 1, v[34:35]
	v_add_nc_u64_e32 v[32:33], v[34:35], v[32:33]
	s_delay_alu instid0(VALU_DEP_1) | instskip(NEXT) | instid1(VALU_DEP_1)
	v_lshrrev_b64 v[32:33], 30, v[32:33]
	v_mul_u64_e32 v[32:33], 0x7fffffff, v[32:33]
	s_delay_alu instid0(VALU_DEP_1)
	v_sub_nc_u64_e32 v[26:27], v[26:27], v[32:33]
	s_branch .LBB27_894
.LBB27_897:
	s_or_b32 exec_lo, exec_lo, s19
	v_add_min_u32_e64 v7, 0x80000001, v48, v48
	s_delay_alu instid0(VALU_DEP_1)
	v_add_min_u32_e64 v37, 0x80000001, v7, v7
.LBB27_898:
	s_or_b32 exec_lo, exec_lo, s7
	v_mov_b32_e32 v7, 0
	s_movk_i32 s9, 0x1388
	s_brev_b32 s10, 12
.LBB27_899:                             ; =>This Inner Loop Header: Depth=1
	v_mul_hi_u32 v36, 0xbc8f1391, v37
	s_add_co_i32 s9, s9, -2
	s_delay_alu instid0(VALU_DEP_2) | instskip(SKIP_1) | instid1(VALU_DEP_2)
	v_add_f32_e32 v54, 1.0, v7
	s_cmp_lg_u32 s9, 0
	v_lshrrev_b32_e32 v36, 15, v36
	s_delay_alu instid0(VALU_DEP_1) | instskip(NEXT) | instid1(VALU_DEP_1)
	v_mul_u32_u24_e32 v38, 0xadc8, v36
	v_sub_nc_u32_e32 v37, v37, v38
	v_mul_u32_u24_e32 v36, 0xd47, v36
	s_delay_alu instid0(VALU_DEP_2) | instskip(NEXT) | instid1(VALU_DEP_2)
	v_mul_lo_u32 v37, 0xbc8f, v37
	v_xor_b32_e32 v38, 0x7fffffff, v36
	v_sub_nc_u32_e32 v39, 0, v36
	s_delay_alu instid0(VALU_DEP_3) | instskip(NEXT) | instid1(VALU_DEP_2)
	v_cmp_lt_u32_e32 vcc_lo, v37, v36
	v_cndmask_b32_e32 v36, v39, v38, vcc_lo
	s_delay_alu instid0(VALU_DEP_1) | instskip(NEXT) | instid1(VALU_DEP_1)
	v_add_nc_u32_e32 v36, v36, v37
	v_mul_hi_u32 v37, 0xbc8f1391, v36
	s_delay_alu instid0(VALU_DEP_1) | instskip(NEXT) | instid1(VALU_DEP_1)
	v_lshrrev_b32_e32 v37, 15, v37
	v_mul_u32_u24_e32 v38, 0xadc8, v37
	v_mul_u32_u24_e32 v37, 0xd47, v37
	s_delay_alu instid0(VALU_DEP_1) | instskip(SKIP_2) | instid1(VALU_DEP_3)
	v_dual_sub_nc_u32 v38, v36, v38 :: v_dual_sub_nc_u32 v48, 0, v37
	v_xor_b32_e32 v39, 0x7fffffff, v37
	v_add_nc_u32_e32 v36, -1, v36
	v_mul_lo_u32 v38, 0xbc8f, v38
	s_delay_alu instid0(VALU_DEP_1) | instskip(NEXT) | instid1(VALU_DEP_4)
	v_cmp_lt_u32_e32 vcc_lo, v38, v37
	v_cndmask_b32_e32 v37, v48, v39, vcc_lo
	s_delay_alu instid0(VALU_DEP_1) | instskip(NEXT) | instid1(VALU_DEP_1)
	v_add_nc_u32_e32 v37, v37, v38
	v_mul_hi_u32 v38, 0xbc8f1391, v37
	s_delay_alu instid0(VALU_DEP_1) | instskip(NEXT) | instid1(VALU_DEP_1)
	v_lshrrev_b32_e32 v38, 15, v38
	v_mul_u32_u24_e32 v39, 0xadc8, v38
	v_mul_u32_u24_e32 v38, 0xd47, v38
	s_delay_alu instid0(VALU_DEP_1) | instskip(SKIP_2) | instid1(VALU_DEP_3)
	v_dual_sub_nc_u32 v49, 0, v38 :: v_dual_sub_nc_u32 v39, v37, v39
	v_xor_b32_e32 v48, 0x7fffffff, v38
	v_add_nc_u32_e32 v37, -1, v37
	v_mul_lo_u32 v39, 0xbc8f, v39
	s_delay_alu instid0(VALU_DEP_1) | instskip(NEXT) | instid1(VALU_DEP_4)
	v_cmp_lt_u32_e32 vcc_lo, v39, v38
	v_cndmask_b32_e32 v38, v49, v48, vcc_lo
	s_delay_alu instid0(VALU_DEP_1) | instskip(NEXT) | instid1(VALU_DEP_1)
	v_add_nc_u32_e32 v48, v38, v39
	v_mul_hi_u32 v38, 0xbc8f1391, v48
	s_delay_alu instid0(VALU_DEP_1) | instskip(NEXT) | instid1(VALU_DEP_1)
	v_lshrrev_b32_e32 v38, 15, v38
	v_mul_u32_u24_e32 v39, 0xadc8, v38
	s_delay_alu instid0(VALU_DEP_1) | instskip(NEXT) | instid1(VALU_DEP_1)
	v_sub_nc_u32_e32 v39, v48, v39
	v_mul_lo_u32 v49, 0xbc8f, v39
	v_mul_u32_u24_e32 v39, 0xd47, v38
	v_cvt_f32_u32_e32 v38, v36
	s_delay_alu instid0(VALU_DEP_2) | instskip(SKIP_3) | instid1(VALU_DEP_3)
	v_xor_b32_e32 v36, 0x7fffffff, v39
	v_sub_nc_u32_e32 v55, 0, v39
	v_cmp_lt_u32_e32 vcc_lo, v49, v39
	v_cvt_f32_u32_e32 v39, v37
	v_cndmask_b32_e32 v36, v55, v36, vcc_lo
	s_delay_alu instid0(VALU_DEP_2) | instskip(NEXT) | instid1(VALU_DEP_2)
	v_pk_fma_f32 v[38:39], v[38:39], s[10:11], 0 op_sel_hi:[1,0,0]
	v_dual_add_nc_u32 v37, v36, v49 :: v_dual_add_nc_u32 v36, -1, v48
	s_delay_alu instid0(VALU_DEP_2) | instskip(NEXT) | instid1(VALU_DEP_2)
	v_pk_mul_f32 v[38:39], v[38:39], v[38:39]
	v_add_nc_u32_e32 v49, -1, v37
	s_delay_alu instid0(VALU_DEP_3) | instskip(NEXT) | instid1(VALU_DEP_3)
	v_cvt_f32_u32_e32 v48, v36
	v_add_f32_e32 v36, v38, v39
	s_delay_alu instid0(VALU_DEP_3) | instskip(NEXT) | instid1(VALU_DEP_2)
	v_cvt_f32_u32_e32 v49, v49
	v_cmp_gt_f32_e32 vcc_lo, 0xf800000, v36
	s_delay_alu instid0(VALU_DEP_2) | instskip(SKIP_1) | instid1(VALU_DEP_2)
	v_pk_fma_f32 v[38:39], v[48:49], s[10:11], 0 op_sel_hi:[1,0,0]
	v_mul_f32_e32 v48, 0x4f800000, v36
	v_pk_mul_f32 v[38:39], v[38:39], v[38:39]
	s_delay_alu instid0(VALU_DEP_1) | instskip(NEXT) | instid1(VALU_DEP_1)
	v_add_f32_e32 v38, v38, v39
	v_cmp_gt_f32_e64 s7, 0xf800000, v38
	s_delay_alu instid0(VALU_DEP_4) | instskip(SKIP_1) | instid1(VALU_DEP_1)
	v_cndmask_b32_e32 v36, v36, v48, vcc_lo
	v_mul_f32_e32 v48, 0x4f800000, v38
	v_cndmask_b32_e64 v38, v38, v48, s7
	s_delay_alu instid0(VALU_DEP_3) | instskip(NEXT) | instid1(VALU_DEP_1)
	v_sqrt_f32_e32 v39, v36
	v_sqrt_f32_e32 v64, v38
	s_delay_alu instid0(TRANS32_DEP_2) | instskip(NEXT) | instid1(VALU_DEP_1)
	v_dual_add_nc_u32 v49, -1, v39 :: v_dual_add_nc_u32 v48, 1, v39
	v_fma_f32 v55, -v49, v39, v36
	s_delay_alu instid0(VALU_DEP_1) | instskip(NEXT) | instid1(VALU_DEP_1)
	v_cmp_ge_f32_e64 s8, 0, v55
	v_dual_fma_f32 v65, -v48, v39, v36 :: v_dual_cndmask_b32 v39, v39, v49, s8
	s_delay_alu instid0(VALU_DEP_1) | instskip(NEXT) | instid1(TRANS32_DEP_1)
	v_cmp_lt_f32_e64 s8, 0, v65
	v_add_nc_u32_e32 v49, -1, v64
	s_delay_alu instid0(VALU_DEP_2) | instskip(NEXT) | instid1(VALU_DEP_2)
	v_cndmask_b32_e64 v39, v39, v48, s8
	v_dual_add_nc_u32 v48, 1, v64 :: v_dual_fma_f32 v55, -v49, v64, v38
	s_delay_alu instid0(VALU_DEP_1) | instskip(NEXT) | instid1(VALU_DEP_1)
	v_cmp_ge_f32_e64 s8, 0, v55
	v_cndmask_b32_e64 v49, v64, v49, s8
	s_delay_alu instid0(VALU_DEP_4) | instskip(NEXT) | instid1(VALU_DEP_1)
	v_mul_f32_e32 v65, 0x37800000, v39
	v_cndmask_b32_e32 v39, v39, v65, vcc_lo
	v_cmp_class_f32_e64 vcc_lo, v36, 0x260
	s_delay_alu instid0(VALU_DEP_2) | instskip(NEXT) | instid1(VALU_DEP_1)
	v_cndmask_b32_e32 v36, v39, v36, vcc_lo
	v_cmp_nge_f32_e32 vcc_lo, 1.0, v36
	s_delay_alu instid0(VALU_DEP_3) | instskip(NEXT) | instid1(VALU_DEP_1)
	v_dual_fma_f32 v66, -v48, v64, v38 :: v_dual_cndmask_b32 v7, v54, v7, vcc_lo
	v_cmp_lt_f32_e64 s8, 0, v66
	v_cmp_class_f32_e64 vcc_lo, v38, 0x260
	s_delay_alu instid0(VALU_DEP_2) | instskip(NEXT) | instid1(VALU_DEP_1)
	v_cndmask_b32_e64 v48, v49, v48, s8
	v_mul_f32_e32 v39, 0x37800000, v48
	s_delay_alu instid0(VALU_DEP_1) | instskip(NEXT) | instid1(VALU_DEP_1)
	v_cndmask_b32_e64 v36, v48, v39, s7
	v_dual_add_f32 v39, 1.0, v7 :: v_dual_cndmask_b32 v36, v36, v38
	s_delay_alu instid0(VALU_DEP_1) | instskip(NEXT) | instid1(VALU_DEP_2)
	v_cmp_nge_f32_e32 vcc_lo, 1.0, v36
	v_cndmask_b32_e32 v7, v39, v7, vcc_lo
	s_cbranch_scc1 .LBB27_899
; %bb.900:
	s_delay_alu instid0(VALU_DEP_1) | instskip(NEXT) | instid1(VALU_DEP_1)
	v_mul_f32_e32 v7, 4.0, v7
	v_div_scale_f32 v36, null, 0x459c4000, 0x459c4000, v7
	s_delay_alu instid0(VALU_DEP_1) | instskip(SKIP_1) | instid1(TRANS32_DEP_1)
	v_rcp_f32_e32 v37, v36
	v_nop
	v_fma_f32 v38, -v36, v37, 1.0
	s_delay_alu instid0(VALU_DEP_1) | instskip(SKIP_1) | instid1(VALU_DEP_1)
	v_fmac_f32_e32 v37, v38, v37
	v_div_scale_f32 v38, vcc_lo, v7, 0x459c4000, v7
	v_mul_f32_e32 v39, v38, v37
	s_delay_alu instid0(VALU_DEP_1) | instskip(NEXT) | instid1(VALU_DEP_1)
	v_fma_f32 v48, -v36, v39, v38
	v_fmac_f32_e32 v39, v48, v37
	s_delay_alu instid0(VALU_DEP_1) | instskip(NEXT) | instid1(VALU_DEP_1)
	v_fma_f32 v36, -v36, v39, v38
	v_div_fmas_f32 v36, v36, v37, v39
	s_delay_alu instid0(VALU_DEP_1)
	v_div_fixup_f32 v7, v36, 0x459c4000, v7
.LBB27_901:
	s_or_b32 exec_lo, exec_lo, s18
	v_or_b32_e32 v36, 0x800, v50
	s_delay_alu instid0(VALU_DEP_1)
	v_cmp_lt_u32_e64 s7, v36, v52
	s_and_saveexec_b32 s18, s7
	s_cbranch_execz .LBB27_921
; %bb.902:
	v_dual_mov_b32 v37, 1 :: v_dual_add_nc_u32 v8, v53, v36
	s_mov_b32 s9, 0
	s_mov_b32 s19, exec_lo
	s_delay_alu instid0(VALU_DEP_1) | instskip(NEXT) | instid1(VALU_DEP_1)
	v_mul_lo_u32 v36, 0x1388, v8
	v_cmpx_ne_u32_e32 0, v36
	s_cbranch_execz .LBB27_918
; %bb.903:
	v_mov_b32_e32 v37, 0
	v_mov_b64_e32 v[48:49], 1
	s_mov_b64 s[16:17], 0xbc8f
	s_mov_b64 s[10:11], 0xfffffffd
	;; [unrolled: 1-line block ×3, first 2 shown]
	v_mov_b64_e32 v[38:39], v[36:37]
	s_mov_b64 s[14:15], 0x80000001
	s_mov_b32 s20, 0
	s_branch .LBB27_905
.LBB27_904:                             ;   in Loop: Header=BB27_905 Depth=1
	s_or_b32 exec_lo, exec_lo, s8
	s_mul_u64 s[16:17], s[16:17], s[16:17]
	s_mov_b32 s23, s9
	s_and_b64 s[24:25], s[16:17], s[10:11]
	s_mov_b32 s8, s17
	s_mul_u64 s[26:27], s[24:25], 3
	s_mul_u64 s[28:29], s[8:9], 3
	s_mov_b32 s22, s27
	s_mul_u64 s[24:25], s[24:25], s[14:15]
	s_add_nc_u64 s[22:23], s[28:29], s[22:23]
	v_lshrrev_b64 v[54:55], 1, v[38:39]
	s_and_b64 s[28:29], s[22:23], s[12:13]
	s_mov_b32 s27, s9
	s_add_nc_u64 s[24:25], s[24:25], s[28:29]
	s_mov_b32 s41, s9
	s_mov_b32 s26, s23
	;; [unrolled: 1-line block ×3, first 2 shown]
	s_mul_u64 s[24:25], s[8:9], s[14:15]
	s_add_nc_u64 s[22:23], s[26:27], s[40:41]
	v_cmp_gt_u64_e32 vcc_lo, 2, v[38:39]
	s_add_nc_u64 s[22:23], s[24:25], s[22:23]
	v_mov_b64_e32 v[38:39], v[54:55]
	s_lshr_b64 s[22:23], s[22:23], 30
	s_delay_alu instid0(SALU_CYCLE_1)
	s_mul_u64 s[22:23], s[22:23], 0x7fffffff
	s_or_b32 s20, vcc_lo, s20
	s_sub_nc_u64 s[16:17], s[16:17], s[22:23]
	s_and_not1_b32 exec_lo, exec_lo, s20
	s_cbranch_execz .LBB27_917
.LBB27_905:                             ; =>This Inner Loop Header: Depth=1
	s_delay_alu instid0(VALU_DEP_1) | instskip(SKIP_1) | instid1(VALU_DEP_1)
	v_and_b32_e32 v8, 1, v38
	s_mov_b32 s8, exec_lo
	v_cmpx_eq_u32_e32 1, v8
	s_cbranch_execz .LBB27_904
; %bb.906:                              ;   in Loop: Header=BB27_905 Depth=1
	v_mul_u64_e32 v[48:49], s[16:17], v[48:49]
	s_delay_alu instid0(VALU_DEP_1) | instskip(NEXT) | instid1(VALU_DEP_1)
	v_mov_b32_e32 v36, v48
	v_mul_u64_e32 v[54:55], 5, v[36:37]
	s_delay_alu instid0(VALU_DEP_1) | instskip(NEXT) | instid1(VALU_DEP_1)
	v_mov_b32_e32 v36, v55
	v_mad_nc_u64_u32 v[54:55], v49, 5, v[36:37]
	s_delay_alu instid0(VALU_DEP_1) | instskip(NEXT) | instid1(VALU_DEP_1)
	v_dual_mov_b32 v36, v55 :: v_dual_mov_b32 v55, v37
	v_mad_nc_u64_u32 v[54:55], v48, 2, v[54:55]
	s_delay_alu instid0(VALU_DEP_1) | instskip(NEXT) | instid1(VALU_DEP_1)
	v_dual_mov_b32 v54, v55 :: v_dual_mov_b32 v55, v37
	v_add_nc_u64_e32 v[54:55], v[36:37], v[54:55]
	s_delay_alu instid0(VALU_DEP_1) | instskip(NEXT) | instid1(VALU_DEP_1)
	v_mad_nc_u64_u32 v[54:55], v49, 2, v[54:55]
	v_sub_nc_u64_e32 v[64:65], v[48:49], v[54:55]
	s_delay_alu instid0(VALU_DEP_1) | instskip(NEXT) | instid1(VALU_DEP_1)
	v_lshrrev_b64 v[64:65], 1, v[64:65]
	v_add_nc_u64_e32 v[54:55], v[64:65], v[54:55]
	s_delay_alu instid0(VALU_DEP_1) | instskip(NEXT) | instid1(VALU_DEP_1)
	v_lshrrev_b64 v[54:55], 30, v[54:55]
	v_mul_u64_e32 v[54:55], 0x7fffffff, v[54:55]
	s_delay_alu instid0(VALU_DEP_1)
	v_sub_nc_u64_e32 v[48:49], v[48:49], v[54:55]
	s_branch .LBB27_904
.LBB27_907:
	s_or_b32 exec_lo, exec_lo, s22
	v_add_min_u32_e64 v10, 0x80000001, v26, v26
	s_delay_alu instid0(VALU_DEP_1)
	v_add_min_u32_e64 v23, 0x80000001, v10, v10
.LBB27_908:
	s_or_b32 exec_lo, exec_lo, s21
	v_mov_b32_e32 v10, 0
	s_movk_i32 s11, 0x1388
	s_brev_b32 s10, 12
.LBB27_909:                             ; =>This Inner Loop Header: Depth=1
	v_mul_hi_u32 v22, 0xbc8f1391, v23
	s_delay_alu instid0(VALU_DEP_2) | instskip(NEXT) | instid1(VALU_DEP_2)
	v_add_f32_e32 v31, 1.0, v10
	v_lshrrev_b32_e32 v22, 15, v22
	s_delay_alu instid0(VALU_DEP_1) | instskip(NEXT) | instid1(VALU_DEP_1)
	v_mul_u32_u24_e32 v24, 0xadc8, v22
	v_sub_nc_u32_e32 v23, v23, v24
	v_mul_u32_u24_e32 v22, 0xd47, v22
	s_delay_alu instid0(VALU_DEP_2) | instskip(NEXT) | instid1(VALU_DEP_2)
	v_mul_lo_u32 v23, 0xbc8f, v23
	v_xor_b32_e32 v24, 0x7fffffff, v22
	v_sub_nc_u32_e32 v25, 0, v22
	s_delay_alu instid0(VALU_DEP_3) | instskip(NEXT) | instid1(VALU_DEP_2)
	v_cmp_lt_u32_e32 vcc_lo, v23, v22
	v_cndmask_b32_e32 v22, v25, v24, vcc_lo
	s_delay_alu instid0(VALU_DEP_1) | instskip(NEXT) | instid1(VALU_DEP_1)
	v_add_nc_u32_e32 v22, v22, v23
	v_mul_hi_u32 v23, 0xbc8f1391, v22
	s_delay_alu instid0(VALU_DEP_1) | instskip(NEXT) | instid1(VALU_DEP_1)
	v_lshrrev_b32_e32 v23, 15, v23
	v_mul_u32_u24_e32 v24, 0xadc8, v23
	v_mul_u32_u24_e32 v23, 0xd47, v23
	s_delay_alu instid0(VALU_DEP_1) | instskip(SKIP_1) | instid1(VALU_DEP_2)
	v_dual_sub_nc_u32 v24, v22, v24 :: v_dual_sub_nc_u32 v26, 0, v23
	v_xor_b32_e32 v25, 0x7fffffff, v23
	v_mul_lo_u32 v24, 0xbc8f, v24
	s_delay_alu instid0(VALU_DEP_1) | instskip(NEXT) | instid1(VALU_DEP_3)
	v_cmp_lt_u32_e32 vcc_lo, v24, v23
	v_cndmask_b32_e32 v23, v26, v25, vcc_lo
	s_delay_alu instid0(VALU_DEP_1) | instskip(NEXT) | instid1(VALU_DEP_1)
	v_add_nc_u32_e32 v23, v23, v24
	v_mul_hi_u32 v24, 0xbc8f1391, v23
	s_delay_alu instid0(VALU_DEP_1) | instskip(NEXT) | instid1(VALU_DEP_1)
	v_lshrrev_b32_e32 v24, 15, v24
	v_mul_u32_u24_e32 v25, 0xadc8, v24
	v_mul_u32_u24_e32 v24, 0xd47, v24
	s_delay_alu instid0(VALU_DEP_1) | instskip(SKIP_1) | instid1(VALU_DEP_2)
	v_dual_sub_nc_u32 v27, 0, v24 :: v_dual_sub_nc_u32 v25, v23, v25
	v_xor_b32_e32 v26, 0x7fffffff, v24
	v_mul_lo_u32 v25, 0xbc8f, v25
	s_delay_alu instid0(VALU_DEP_1) | instskip(NEXT) | instid1(VALU_DEP_3)
	v_cmp_lt_u32_e32 vcc_lo, v25, v24
	v_cndmask_b32_e32 v24, v27, v26, vcc_lo
	s_delay_alu instid0(VALU_DEP_1) | instskip(NEXT) | instid1(VALU_DEP_1)
	v_add_nc_u32_e32 v26, v24, v25
	v_mul_hi_u32 v24, 0xbc8f1391, v26
	s_delay_alu instid0(VALU_DEP_1) | instskip(NEXT) | instid1(VALU_DEP_1)
	v_lshrrev_b32_e32 v24, 15, v24
	v_mul_u32_u24_e32 v25, 0xadc8, v24
	s_delay_alu instid0(VALU_DEP_1) | instskip(NEXT) | instid1(VALU_DEP_1)
	v_sub_nc_u32_e32 v25, v26, v25
	v_mul_lo_u32 v27, 0xbc8f, v25
	v_mul_u32_u24_e32 v25, 0xd47, v24
	s_delay_alu instid0(VALU_DEP_1) | instskip(NEXT) | instid1(VALU_DEP_1)
	v_dual_add_nc_u32 v22, -1, v22 :: v_dual_sub_nc_u32 v32, 0, v25
	v_cvt_f32_u32_e32 v24, v22
	v_xor_b32_e32 v22, 0x7fffffff, v25
	v_cmp_lt_u32_e32 vcc_lo, v27, v25
	s_delay_alu instid0(VALU_DEP_2) | instskip(NEXT) | instid1(VALU_DEP_1)
	v_dual_cndmask_b32 v22, v32, v22 :: v_dual_add_nc_u32 v23, -1, v23
	v_cvt_f32_u32_e32 v25, v23
	s_delay_alu instid0(VALU_DEP_2) | instskip(NEXT) | instid1(VALU_DEP_2)
	v_dual_add_nc_u32 v23, v22, v27 :: v_dual_add_nc_u32 v22, -1, v26
	v_pk_fma_f32 v[24:25], v[24:25], s[10:11], 0 op_sel_hi:[1,0,0]
	s_delay_alu instid0(VALU_DEP_2) | instskip(NEXT) | instid1(VALU_DEP_2)
	v_cvt_f32_u32_e32 v26, v22
	v_pk_mul_f32 v[24:25], v[24:25], v[24:25]
	s_delay_alu instid0(VALU_DEP_1) | instskip(NEXT) | instid1(VALU_DEP_1)
	v_dual_add_f32 v22, v24, v25 :: v_dual_add_nc_u32 v27, -1, v23
	v_cvt_f32_u32_e32 v27, v27
	s_delay_alu instid0(VALU_DEP_2) | instskip(NEXT) | instid1(VALU_DEP_2)
	v_cmp_gt_f32_e32 vcc_lo, 0xf800000, v22
	v_pk_fma_f32 v[24:25], v[26:27], s[10:11], 0 op_sel_hi:[1,0,0]
	v_mul_f32_e32 v26, 0x4f800000, v22
	s_add_co_i32 s11, s11, -2
	s_delay_alu instid0(SALU_CYCLE_1) | instskip(NEXT) | instid1(VALU_DEP_2)
	s_cmp_lg_u32 s11, 0
	v_pk_mul_f32 v[24:25], v[24:25], v[24:25]
	s_delay_alu instid0(VALU_DEP_1) | instskip(NEXT) | instid1(VALU_DEP_1)
	v_dual_cndmask_b32 v22, v22, v26, vcc_lo :: v_dual_add_f32 v24, v24, v25
	v_sqrt_f32_e32 v25, v22
	s_delay_alu instid0(VALU_DEP_1)
	v_mul_f32_e32 v26, 0x4f800000, v24
	v_cmp_gt_f32_e64 s8, 0xf800000, v24
	s_delay_alu instid0(TRANS32_DEP_1) | instid1(VALU_DEP_1)
	v_dual_add_nc_u32 v27, -1, v25 :: v_dual_cndmask_b32 v24, v24, v26, s8
	s_delay_alu instid0(VALU_DEP_1) | instskip(NEXT) | instid1(VALU_DEP_2)
	v_dual_add_nc_u32 v26, 1, v25 :: v_dual_fma_f32 v32, -v27, v25, v22
	v_sqrt_f32_e32 v33, v24
	s_delay_alu instid0(VALU_DEP_1) | instskip(NEXT) | instid1(VALU_DEP_2)
	v_fma_f32 v34, -v26, v25, v22
	v_cmp_ge_f32_e64 s9, 0, v32
	s_delay_alu instid0(VALU_DEP_1) | instskip(NEXT) | instid1(VALU_DEP_3)
	v_cndmask_b32_e64 v25, v25, v27, s9
	v_cmp_lt_f32_e64 s9, 0, v34
	s_delay_alu instid0(TRANS32_DEP_1) | instid1(VALU_DEP_1)
	v_dual_add_nc_u32 v27, -1, v33 :: v_dual_cndmask_b32 v25, v25, v26, s9
	s_delay_alu instid0(VALU_DEP_1) | instskip(NEXT) | instid1(VALU_DEP_1)
	v_dual_fma_f32 v32, -v27, v33, v24 :: v_dual_add_nc_u32 v26, 1, v33
	v_cmp_ge_f32_e64 s9, 0, v32
	s_delay_alu instid0(VALU_DEP_1) | instskip(NEXT) | instid1(VALU_DEP_1)
	v_dual_fma_f32 v35, -v26, v33, v24 :: v_dual_cndmask_b32 v27, v33, v27, s9
	v_cmp_lt_f32_e64 s9, 0, v35
	s_delay_alu instid0(VALU_DEP_1) | instskip(SKIP_1) | instid1(VALU_DEP_1)
	v_cndmask_b32_e64 v26, v27, v26, s9
	v_mul_f32_e32 v34, 0x37800000, v25
	v_cndmask_b32_e32 v25, v25, v34, vcc_lo
	v_cmp_class_f32_e64 vcc_lo, v22, 0x260
	s_delay_alu instid0(VALU_DEP_2) | instskip(SKIP_1) | instid1(VALU_DEP_2)
	v_cndmask_b32_e32 v22, v25, v22, vcc_lo
	v_mul_f32_e32 v25, 0x37800000, v26
	v_cmp_nge_f32_e32 vcc_lo, 1.0, v22
	s_delay_alu instid0(VALU_DEP_2) | instskip(SKIP_1) | instid1(VALU_DEP_2)
	v_dual_cndmask_b32 v22, v26, v25, s8 :: v_dual_cndmask_b32 v10, v31, v10, vcc_lo
	v_cmp_class_f32_e64 vcc_lo, v24, 0x260
	v_dual_add_f32 v25, 1.0, v10 :: v_dual_cndmask_b32 v22, v22, v24
	s_delay_alu instid0(VALU_DEP_1) | instskip(NEXT) | instid1(VALU_DEP_2)
	v_cmp_nge_f32_e32 vcc_lo, 1.0, v22
	v_cndmask_b32_e32 v10, v25, v10, vcc_lo
	s_cbranch_scc1 .LBB27_909
; %bb.910:
	s_delay_alu instid0(VALU_DEP_1) | instskip(NEXT) | instid1(VALU_DEP_1)
	v_mul_f32_e32 v10, 4.0, v10
	v_div_scale_f32 v22, null, 0x459c4000, 0x459c4000, v10
	s_delay_alu instid0(VALU_DEP_1) | instskip(SKIP_1) | instid1(TRANS32_DEP_1)
	v_rcp_f32_e32 v23, v22
	v_nop
	v_fma_f32 v24, -v22, v23, 1.0
	s_delay_alu instid0(VALU_DEP_1) | instskip(SKIP_1) | instid1(VALU_DEP_1)
	v_fmac_f32_e32 v23, v24, v23
	v_div_scale_f32 v24, vcc_lo, v10, 0x459c4000, v10
	v_mul_f32_e32 v25, v24, v23
	s_delay_alu instid0(VALU_DEP_1) | instskip(NEXT) | instid1(VALU_DEP_1)
	v_fma_f32 v26, -v22, v25, v24
	v_fmac_f32_e32 v25, v26, v23
	s_delay_alu instid0(VALU_DEP_1) | instskip(NEXT) | instid1(VALU_DEP_1)
	v_fma_f32 v22, -v22, v25, v24
	v_div_fmas_f32 v22, v22, v23, v25
	s_delay_alu instid0(VALU_DEP_1)
	v_div_fixup_f32 v10, v22, 0x459c4000, v10
.LBB27_911:
	s_or_b32 exec_lo, exec_lo, s20
	v_add_nc_u32_e32 v22, 0x900, v50
	s_delay_alu instid0(VALU_DEP_1)
	v_cmp_lt_u32_e64 s8, v22, v29
	s_and_saveexec_b32 s22, s8
	s_cbranch_execz .LBB27_931
; %bb.912:
	v_dual_add_nc_u32 v11, v30, v22 :: v_dual_mov_b32 v23, 1
	s_mov_b32 s11, 0
	s_mov_b32 s9, exec_lo
	s_delay_alu instid0(VALU_DEP_1) | instskip(NEXT) | instid1(VALU_DEP_1)
	v_mul_lo_u32 v22, 0x1388, v11
	v_cmpx_ne_u32_e32 0, v22
	s_cbranch_execz .LBB27_928
; %bb.913:
	v_mov_b32_e32 v23, 0
	v_mov_b64_e32 v[26:27], 1
	s_mov_b64 s[20:21], 0xbc8f
	s_mov_b64 s[12:13], 0xfffffffd
	;; [unrolled: 1-line block ×3, first 2 shown]
	v_mov_b64_e32 v[24:25], v[22:23]
	s_mov_b64 s[16:17], 0x80000001
	s_mov_b32 s23, 0
	s_branch .LBB27_915
.LBB27_914:                             ;   in Loop: Header=BB27_915 Depth=1
	s_or_b32 exec_lo, exec_lo, s10
	s_mul_u64 s[20:21], s[20:21], s[20:21]
	s_mov_b32 s25, s11
	s_and_b64 s[26:27], s[20:21], s[12:13]
	s_mov_b32 s10, s21
	s_mul_u64 s[42:43], s[26:27], 3
	s_mul_u64 s[44:45], s[10:11], 3
	s_mov_b32 s24, s43
	s_mul_u64 s[26:27], s[26:27], s[16:17]
	s_add_nc_u64 s[24:25], s[44:45], s[24:25]
	v_lshrrev_b64 v[32:33], 1, v[24:25]
	s_and_b64 s[44:45], s[24:25], s[14:15]
	s_mov_b32 s43, s11
	s_add_nc_u64 s[26:27], s[26:27], s[44:45]
	s_mov_b32 s47, s11
	s_mov_b32 s42, s25
	;; [unrolled: 1-line block ×3, first 2 shown]
	s_mul_u64 s[26:27], s[10:11], s[16:17]
	s_add_nc_u64 s[24:25], s[42:43], s[46:47]
	v_cmp_gt_u64_e32 vcc_lo, 2, v[24:25]
	s_add_nc_u64 s[24:25], s[26:27], s[24:25]
	v_mov_b64_e32 v[24:25], v[32:33]
	s_lshr_b64 s[24:25], s[24:25], 30
	s_delay_alu instid0(SALU_CYCLE_1)
	s_mul_u64 s[24:25], s[24:25], 0x7fffffff
	s_or_b32 s23, vcc_lo, s23
	s_sub_nc_u64 s[20:21], s[20:21], s[24:25]
	s_and_not1_b32 exec_lo, exec_lo, s23
	s_cbranch_execz .LBB27_927
.LBB27_915:                             ; =>This Inner Loop Header: Depth=1
	s_delay_alu instid0(VALU_DEP_1) | instskip(SKIP_1) | instid1(VALU_DEP_1)
	v_and_b32_e32 v11, 1, v24
	s_mov_b32 s10, exec_lo
	v_cmpx_eq_u32_e32 1, v11
	s_cbranch_execz .LBB27_914
; %bb.916:                              ;   in Loop: Header=BB27_915 Depth=1
	v_mul_u64_e32 v[26:27], s[20:21], v[26:27]
	s_delay_alu instid0(VALU_DEP_1) | instskip(NEXT) | instid1(VALU_DEP_1)
	v_mov_b32_e32 v22, v26
	v_mul_u64_e32 v[32:33], 5, v[22:23]
	s_delay_alu instid0(VALU_DEP_1) | instskip(NEXT) | instid1(VALU_DEP_1)
	v_mov_b32_e32 v22, v33
	v_mad_nc_u64_u32 v[32:33], v27, 5, v[22:23]
	s_delay_alu instid0(VALU_DEP_1) | instskip(NEXT) | instid1(VALU_DEP_1)
	v_dual_mov_b32 v22, v33 :: v_dual_mov_b32 v33, v23
	v_mad_nc_u64_u32 v[32:33], v26, 2, v[32:33]
	s_delay_alu instid0(VALU_DEP_1) | instskip(NEXT) | instid1(VALU_DEP_1)
	v_dual_mov_b32 v32, v33 :: v_dual_mov_b32 v33, v23
	v_add_nc_u64_e32 v[32:33], v[22:23], v[32:33]
	s_delay_alu instid0(VALU_DEP_1) | instskip(NEXT) | instid1(VALU_DEP_1)
	v_mad_nc_u64_u32 v[32:33], v27, 2, v[32:33]
	v_sub_nc_u64_e32 v[34:35], v[26:27], v[32:33]
	s_delay_alu instid0(VALU_DEP_1) | instskip(NEXT) | instid1(VALU_DEP_1)
	v_lshrrev_b64 v[34:35], 1, v[34:35]
	v_add_nc_u64_e32 v[32:33], v[34:35], v[32:33]
	s_delay_alu instid0(VALU_DEP_1) | instskip(NEXT) | instid1(VALU_DEP_1)
	v_lshrrev_b64 v[32:33], 30, v[32:33]
	v_mul_u64_e32 v[32:33], 0x7fffffff, v[32:33]
	s_delay_alu instid0(VALU_DEP_1)
	v_sub_nc_u64_e32 v[26:27], v[26:27], v[32:33]
	s_branch .LBB27_914
.LBB27_917:
	s_or_b32 exec_lo, exec_lo, s20
	v_add_min_u32_e64 v8, 0x80000001, v48, v48
	s_delay_alu instid0(VALU_DEP_1)
	v_add_min_u32_e64 v37, 0x80000001, v8, v8
.LBB27_918:
	s_or_b32 exec_lo, exec_lo, s19
	v_mov_b32_e32 v8, 0
	s_movk_i32 s11, 0x1388
	s_brev_b32 s10, 12
.LBB27_919:                             ; =>This Inner Loop Header: Depth=1
	v_mul_hi_u32 v36, 0xbc8f1391, v37
	s_delay_alu instid0(VALU_DEP_2) | instskip(NEXT) | instid1(VALU_DEP_2)
	v_add_f32_e32 v54, 1.0, v8
	v_lshrrev_b32_e32 v36, 15, v36
	s_delay_alu instid0(VALU_DEP_1) | instskip(NEXT) | instid1(VALU_DEP_1)
	v_mul_u32_u24_e32 v38, 0xadc8, v36
	v_sub_nc_u32_e32 v37, v37, v38
	v_mul_u32_u24_e32 v36, 0xd47, v36
	s_delay_alu instid0(VALU_DEP_2) | instskip(NEXT) | instid1(VALU_DEP_2)
	v_mul_lo_u32 v37, 0xbc8f, v37
	v_xor_b32_e32 v38, 0x7fffffff, v36
	v_sub_nc_u32_e32 v39, 0, v36
	s_delay_alu instid0(VALU_DEP_3) | instskip(NEXT) | instid1(VALU_DEP_2)
	v_cmp_lt_u32_e32 vcc_lo, v37, v36
	v_cndmask_b32_e32 v36, v39, v38, vcc_lo
	s_delay_alu instid0(VALU_DEP_1) | instskip(NEXT) | instid1(VALU_DEP_1)
	v_add_nc_u32_e32 v36, v36, v37
	v_mul_hi_u32 v37, 0xbc8f1391, v36
	s_delay_alu instid0(VALU_DEP_1) | instskip(NEXT) | instid1(VALU_DEP_1)
	v_lshrrev_b32_e32 v37, 15, v37
	v_mul_u32_u24_e32 v38, 0xadc8, v37
	v_mul_u32_u24_e32 v37, 0xd47, v37
	s_delay_alu instid0(VALU_DEP_1) | instskip(SKIP_1) | instid1(VALU_DEP_2)
	v_dual_sub_nc_u32 v38, v36, v38 :: v_dual_sub_nc_u32 v48, 0, v37
	v_xor_b32_e32 v39, 0x7fffffff, v37
	v_mul_lo_u32 v38, 0xbc8f, v38
	s_delay_alu instid0(VALU_DEP_1) | instskip(NEXT) | instid1(VALU_DEP_3)
	v_cmp_lt_u32_e32 vcc_lo, v38, v37
	v_cndmask_b32_e32 v37, v48, v39, vcc_lo
	s_delay_alu instid0(VALU_DEP_1) | instskip(NEXT) | instid1(VALU_DEP_1)
	v_add_nc_u32_e32 v37, v37, v38
	v_mul_hi_u32 v38, 0xbc8f1391, v37
	s_delay_alu instid0(VALU_DEP_1) | instskip(NEXT) | instid1(VALU_DEP_1)
	v_lshrrev_b32_e32 v38, 15, v38
	v_mul_u32_u24_e32 v39, 0xadc8, v38
	v_mul_u32_u24_e32 v38, 0xd47, v38
	s_delay_alu instid0(VALU_DEP_1) | instskip(SKIP_1) | instid1(VALU_DEP_2)
	v_dual_sub_nc_u32 v49, 0, v38 :: v_dual_sub_nc_u32 v39, v37, v39
	v_xor_b32_e32 v48, 0x7fffffff, v38
	v_mul_lo_u32 v39, 0xbc8f, v39
	s_delay_alu instid0(VALU_DEP_1) | instskip(NEXT) | instid1(VALU_DEP_3)
	v_cmp_lt_u32_e32 vcc_lo, v39, v38
	v_cndmask_b32_e32 v38, v49, v48, vcc_lo
	s_delay_alu instid0(VALU_DEP_1) | instskip(NEXT) | instid1(VALU_DEP_1)
	v_add_nc_u32_e32 v48, v38, v39
	v_mul_hi_u32 v38, 0xbc8f1391, v48
	s_delay_alu instid0(VALU_DEP_1) | instskip(NEXT) | instid1(VALU_DEP_1)
	v_lshrrev_b32_e32 v38, 15, v38
	v_mul_u32_u24_e32 v39, 0xadc8, v38
	s_delay_alu instid0(VALU_DEP_1) | instskip(NEXT) | instid1(VALU_DEP_1)
	v_sub_nc_u32_e32 v39, v48, v39
	v_mul_lo_u32 v49, 0xbc8f, v39
	v_mul_u32_u24_e32 v39, 0xd47, v38
	s_delay_alu instid0(VALU_DEP_1) | instskip(NEXT) | instid1(VALU_DEP_1)
	v_dual_add_nc_u32 v36, -1, v36 :: v_dual_sub_nc_u32 v55, 0, v39
	v_cvt_f32_u32_e32 v38, v36
	v_xor_b32_e32 v36, 0x7fffffff, v39
	v_cmp_lt_u32_e32 vcc_lo, v49, v39
	s_delay_alu instid0(VALU_DEP_2) | instskip(NEXT) | instid1(VALU_DEP_1)
	v_dual_cndmask_b32 v36, v55, v36 :: v_dual_add_nc_u32 v37, -1, v37
	v_cvt_f32_u32_e32 v39, v37
	s_delay_alu instid0(VALU_DEP_2) | instskip(NEXT) | instid1(VALU_DEP_2)
	v_dual_add_nc_u32 v37, v36, v49 :: v_dual_add_nc_u32 v36, -1, v48
	v_pk_fma_f32 v[38:39], v[38:39], s[10:11], 0 op_sel_hi:[1,0,0]
	s_delay_alu instid0(VALU_DEP_2) | instskip(NEXT) | instid1(VALU_DEP_2)
	v_cvt_f32_u32_e32 v48, v36
	v_pk_mul_f32 v[38:39], v[38:39], v[38:39]
	s_delay_alu instid0(VALU_DEP_1) | instskip(NEXT) | instid1(VALU_DEP_1)
	v_dual_add_f32 v36, v38, v39 :: v_dual_add_nc_u32 v49, -1, v37
	v_cvt_f32_u32_e32 v49, v49
	s_delay_alu instid0(VALU_DEP_2) | instskip(NEXT) | instid1(VALU_DEP_2)
	v_cmp_gt_f32_e32 vcc_lo, 0xf800000, v36
	v_pk_fma_f32 v[38:39], v[48:49], s[10:11], 0 op_sel_hi:[1,0,0]
	v_mul_f32_e32 v48, 0x4f800000, v36
	s_add_co_i32 s11, s11, -2
	s_delay_alu instid0(SALU_CYCLE_1) | instskip(NEXT) | instid1(VALU_DEP_2)
	s_cmp_lg_u32 s11, 0
	v_pk_mul_f32 v[38:39], v[38:39], v[38:39]
	s_delay_alu instid0(VALU_DEP_1) | instskip(NEXT) | instid1(VALU_DEP_1)
	v_dual_cndmask_b32 v36, v36, v48, vcc_lo :: v_dual_add_f32 v38, v38, v39
	v_sqrt_f32_e32 v39, v36
	s_delay_alu instid0(VALU_DEP_1)
	v_mul_f32_e32 v48, 0x4f800000, v38
	v_cmp_gt_f32_e64 s8, 0xf800000, v38
	s_delay_alu instid0(TRANS32_DEP_1) | instid1(VALU_DEP_1)
	v_dual_add_nc_u32 v49, -1, v39 :: v_dual_cndmask_b32 v38, v38, v48, s8
	s_delay_alu instid0(VALU_DEP_1) | instskip(NEXT) | instid1(VALU_DEP_2)
	v_dual_add_nc_u32 v48, 1, v39 :: v_dual_fma_f32 v55, -v49, v39, v36
	v_sqrt_f32_e32 v64, v38
	s_delay_alu instid0(VALU_DEP_1) | instskip(NEXT) | instid1(VALU_DEP_2)
	v_fma_f32 v65, -v48, v39, v36
	v_cmp_ge_f32_e64 s9, 0, v55
	s_delay_alu instid0(VALU_DEP_1) | instskip(NEXT) | instid1(VALU_DEP_3)
	v_cndmask_b32_e64 v39, v39, v49, s9
	v_cmp_lt_f32_e64 s9, 0, v65
	s_delay_alu instid0(TRANS32_DEP_1) | instskip(NEXT) | instid1(VALU_DEP_2)
	v_add_nc_u32_e32 v49, -1, v64
	v_cndmask_b32_e64 v39, v39, v48, s9
	s_delay_alu instid0(VALU_DEP_2) | instskip(NEXT) | instid1(VALU_DEP_1)
	v_dual_add_nc_u32 v48, 1, v64 :: v_dual_fma_f32 v55, -v49, v64, v38
	v_fma_f32 v66, -v48, v64, v38
	s_delay_alu instid0(VALU_DEP_2) | instskip(NEXT) | instid1(VALU_DEP_1)
	v_cmp_ge_f32_e64 s9, 0, v55
	v_cndmask_b32_e64 v49, v64, v49, s9
	v_mul_f32_e32 v65, 0x37800000, v39
	s_delay_alu instid0(VALU_DEP_4) | instskip(NEXT) | instid1(VALU_DEP_1)
	v_cmp_lt_f32_e64 s9, 0, v66
	v_dual_cndmask_b32 v39, v39, v65, vcc_lo :: v_dual_cndmask_b32 v48, v49, v48, s9
	v_cmp_class_f32_e64 vcc_lo, v36, 0x260
	s_delay_alu instid0(VALU_DEP_2) | instskip(NEXT) | instid1(VALU_DEP_1)
	v_cndmask_b32_e32 v36, v39, v36, vcc_lo
	v_cmp_nge_f32_e32 vcc_lo, 1.0, v36
	v_cndmask_b32_e32 v8, v54, v8, vcc_lo
	v_cmp_class_f32_e64 vcc_lo, v38, 0x260
	v_mul_f32_e32 v39, 0x37800000, v48
	s_delay_alu instid0(VALU_DEP_1) | instskip(NEXT) | instid1(VALU_DEP_1)
	v_dual_cndmask_b32 v36, v48, v39, s8 :: v_dual_add_f32 v39, 1.0, v8
	v_cndmask_b32_e32 v36, v36, v38, vcc_lo
	s_delay_alu instid0(VALU_DEP_1) | instskip(NEXT) | instid1(VALU_DEP_3)
	v_cmp_nge_f32_e32 vcc_lo, 1.0, v36
	v_cndmask_b32_e32 v8, v39, v8, vcc_lo
	s_cbranch_scc1 .LBB27_919
; %bb.920:
	s_delay_alu instid0(VALU_DEP_1) | instskip(NEXT) | instid1(VALU_DEP_1)
	v_mul_f32_e32 v8, 4.0, v8
	v_div_scale_f32 v36, null, 0x459c4000, 0x459c4000, v8
	s_delay_alu instid0(VALU_DEP_1) | instskip(SKIP_1) | instid1(TRANS32_DEP_1)
	v_rcp_f32_e32 v37, v36
	v_nop
	v_fma_f32 v38, -v36, v37, 1.0
	s_delay_alu instid0(VALU_DEP_1) | instskip(SKIP_1) | instid1(VALU_DEP_1)
	v_fmac_f32_e32 v37, v38, v37
	v_div_scale_f32 v38, vcc_lo, v8, 0x459c4000, v8
	v_mul_f32_e32 v39, v38, v37
	s_delay_alu instid0(VALU_DEP_1) | instskip(NEXT) | instid1(VALU_DEP_1)
	v_fma_f32 v48, -v36, v39, v38
	v_fmac_f32_e32 v39, v48, v37
	s_delay_alu instid0(VALU_DEP_1) | instskip(NEXT) | instid1(VALU_DEP_1)
	v_fma_f32 v36, -v36, v39, v38
	v_div_fmas_f32 v36, v36, v37, v39
	s_delay_alu instid0(VALU_DEP_1)
	v_div_fixup_f32 v8, v36, 0x459c4000, v8
.LBB27_921:
	s_or_b32 exec_lo, exec_lo, s18
	v_add_nc_u32_e32 v36, 0x900, v50
	s_delay_alu instid0(VALU_DEP_1)
	v_cmp_lt_u32_e64 s8, v36, v52
	s_and_saveexec_b32 s20, s8
	s_cbranch_execz .LBB27_941
; %bb.922:
	v_dual_add_nc_u32 v9, v53, v36 :: v_dual_mov_b32 v37, 1
	s_mov_b32 s11, 0
	s_mov_b32 s9, exec_lo
	s_delay_alu instid0(VALU_DEP_1) | instskip(NEXT) | instid1(VALU_DEP_1)
	v_mul_lo_u32 v36, 0x1388, v9
	v_cmpx_ne_u32_e32 0, v36
	s_cbranch_execz .LBB27_938
; %bb.923:
	v_mov_b32_e32 v37, 0
	v_mov_b64_e32 v[48:49], 1
	s_mov_b64 s[18:19], 0xbc8f
	s_mov_b64 s[12:13], 0xfffffffd
	;; [unrolled: 1-line block ×3, first 2 shown]
	v_mov_b64_e32 v[38:39], v[36:37]
	s_mov_b64 s[16:17], 0x80000001
	s_mov_b32 s21, 0
	s_branch .LBB27_925
.LBB27_924:                             ;   in Loop: Header=BB27_925 Depth=1
	s_or_b32 exec_lo, exec_lo, s10
	s_mul_u64 s[18:19], s[18:19], s[18:19]
	s_mov_b32 s23, s11
	s_and_b64 s[24:25], s[18:19], s[12:13]
	s_mov_b32 s10, s19
	s_mul_u64 s[26:27], s[24:25], 3
	s_mul_u64 s[28:29], s[10:11], 3
	s_mov_b32 s22, s27
	s_mul_u64 s[24:25], s[24:25], s[16:17]
	s_add_nc_u64 s[22:23], s[28:29], s[22:23]
	v_lshrrev_b64 v[54:55], 1, v[38:39]
	s_and_b64 s[28:29], s[22:23], s[14:15]
	s_mov_b32 s27, s11
	s_add_nc_u64 s[24:25], s[24:25], s[28:29]
	s_mov_b32 s41, s11
	s_mov_b32 s26, s23
	;; [unrolled: 1-line block ×3, first 2 shown]
	s_mul_u64 s[24:25], s[10:11], s[16:17]
	s_add_nc_u64 s[22:23], s[26:27], s[40:41]
	v_cmp_gt_u64_e32 vcc_lo, 2, v[38:39]
	s_add_nc_u64 s[22:23], s[24:25], s[22:23]
	v_mov_b64_e32 v[38:39], v[54:55]
	s_lshr_b64 s[22:23], s[22:23], 30
	s_delay_alu instid0(SALU_CYCLE_1)
	s_mul_u64 s[22:23], s[22:23], 0x7fffffff
	s_or_b32 s21, vcc_lo, s21
	s_sub_nc_u64 s[18:19], s[18:19], s[22:23]
	s_and_not1_b32 exec_lo, exec_lo, s21
	s_cbranch_execz .LBB27_937
.LBB27_925:                             ; =>This Inner Loop Header: Depth=1
	s_delay_alu instid0(VALU_DEP_1) | instskip(SKIP_1) | instid1(VALU_DEP_1)
	v_and_b32_e32 v9, 1, v38
	s_mov_b32 s10, exec_lo
	v_cmpx_eq_u32_e32 1, v9
	s_cbranch_execz .LBB27_924
; %bb.926:                              ;   in Loop: Header=BB27_925 Depth=1
	v_mul_u64_e32 v[48:49], s[18:19], v[48:49]
	s_delay_alu instid0(VALU_DEP_1) | instskip(NEXT) | instid1(VALU_DEP_1)
	v_mov_b32_e32 v36, v48
	v_mul_u64_e32 v[54:55], 5, v[36:37]
	s_delay_alu instid0(VALU_DEP_1) | instskip(NEXT) | instid1(VALU_DEP_1)
	v_mov_b32_e32 v36, v55
	v_mad_nc_u64_u32 v[54:55], v49, 5, v[36:37]
	s_delay_alu instid0(VALU_DEP_1) | instskip(NEXT) | instid1(VALU_DEP_1)
	v_dual_mov_b32 v36, v55 :: v_dual_mov_b32 v55, v37
	v_mad_nc_u64_u32 v[54:55], v48, 2, v[54:55]
	s_delay_alu instid0(VALU_DEP_1) | instskip(NEXT) | instid1(VALU_DEP_1)
	v_dual_mov_b32 v54, v55 :: v_dual_mov_b32 v55, v37
	v_add_nc_u64_e32 v[54:55], v[36:37], v[54:55]
	s_delay_alu instid0(VALU_DEP_1) | instskip(NEXT) | instid1(VALU_DEP_1)
	v_mad_nc_u64_u32 v[54:55], v49, 2, v[54:55]
	v_sub_nc_u64_e32 v[64:65], v[48:49], v[54:55]
	s_delay_alu instid0(VALU_DEP_1) | instskip(NEXT) | instid1(VALU_DEP_1)
	v_lshrrev_b64 v[64:65], 1, v[64:65]
	v_add_nc_u64_e32 v[54:55], v[64:65], v[54:55]
	s_delay_alu instid0(VALU_DEP_1) | instskip(NEXT) | instid1(VALU_DEP_1)
	v_lshrrev_b64 v[54:55], 30, v[54:55]
	v_mul_u64_e32 v[54:55], 0x7fffffff, v[54:55]
	s_delay_alu instid0(VALU_DEP_1)
	v_sub_nc_u64_e32 v[48:49], v[48:49], v[54:55]
	s_branch .LBB27_924
.LBB27_927:
	s_or_b32 exec_lo, exec_lo, s23
	v_add_min_u32_e64 v11, 0x80000001, v26, v26
	s_delay_alu instid0(VALU_DEP_1)
	v_add_min_u32_e64 v23, 0x80000001, v11, v11
.LBB27_928:
	s_or_b32 exec_lo, exec_lo, s9
	v_mov_b32_e32 v11, 0
	s_movk_i32 s11, 0x1388
	s_brev_b32 s12, 12
.LBB27_929:                             ; =>This Inner Loop Header: Depth=1
	v_mul_hi_u32 v22, 0xbc8f1391, v23
	s_add_co_i32 s11, s11, -2
	s_delay_alu instid0(VALU_DEP_2) | instskip(SKIP_1) | instid1(VALU_DEP_2)
	v_add_f32_e32 v31, 1.0, v11
	s_cmp_lg_u32 s11, 0
	v_lshrrev_b32_e32 v22, 15, v22
	s_delay_alu instid0(VALU_DEP_1) | instskip(NEXT) | instid1(VALU_DEP_1)
	v_mul_u32_u24_e32 v24, 0xadc8, v22
	v_sub_nc_u32_e32 v23, v23, v24
	v_mul_u32_u24_e32 v22, 0xd47, v22
	s_delay_alu instid0(VALU_DEP_2) | instskip(NEXT) | instid1(VALU_DEP_2)
	v_mul_lo_u32 v23, 0xbc8f, v23
	v_xor_b32_e32 v24, 0x7fffffff, v22
	v_sub_nc_u32_e32 v25, 0, v22
	s_delay_alu instid0(VALU_DEP_3) | instskip(NEXT) | instid1(VALU_DEP_2)
	v_cmp_lt_u32_e32 vcc_lo, v23, v22
	v_cndmask_b32_e32 v22, v25, v24, vcc_lo
	s_delay_alu instid0(VALU_DEP_1) | instskip(NEXT) | instid1(VALU_DEP_1)
	v_add_nc_u32_e32 v22, v22, v23
	v_mul_hi_u32 v23, 0xbc8f1391, v22
	s_delay_alu instid0(VALU_DEP_1) | instskip(NEXT) | instid1(VALU_DEP_1)
	v_lshrrev_b32_e32 v23, 15, v23
	v_mul_u32_u24_e32 v24, 0xadc8, v23
	v_mul_u32_u24_e32 v23, 0xd47, v23
	s_delay_alu instid0(VALU_DEP_1) | instskip(SKIP_2) | instid1(VALU_DEP_3)
	v_dual_sub_nc_u32 v24, v22, v24 :: v_dual_sub_nc_u32 v26, 0, v23
	v_xor_b32_e32 v25, 0x7fffffff, v23
	v_add_nc_u32_e32 v22, -1, v22
	v_mul_lo_u32 v24, 0xbc8f, v24
	s_delay_alu instid0(VALU_DEP_1) | instskip(NEXT) | instid1(VALU_DEP_4)
	v_cmp_lt_u32_e32 vcc_lo, v24, v23
	v_cndmask_b32_e32 v23, v26, v25, vcc_lo
	s_delay_alu instid0(VALU_DEP_1) | instskip(NEXT) | instid1(VALU_DEP_1)
	v_add_nc_u32_e32 v23, v23, v24
	v_mul_hi_u32 v24, 0xbc8f1391, v23
	s_delay_alu instid0(VALU_DEP_1) | instskip(NEXT) | instid1(VALU_DEP_1)
	v_lshrrev_b32_e32 v24, 15, v24
	v_mul_u32_u24_e32 v25, 0xadc8, v24
	v_mul_u32_u24_e32 v24, 0xd47, v24
	s_delay_alu instid0(VALU_DEP_1) | instskip(SKIP_2) | instid1(VALU_DEP_3)
	v_dual_sub_nc_u32 v27, 0, v24 :: v_dual_sub_nc_u32 v25, v23, v25
	v_xor_b32_e32 v26, 0x7fffffff, v24
	v_add_nc_u32_e32 v23, -1, v23
	v_mul_lo_u32 v25, 0xbc8f, v25
	s_delay_alu instid0(VALU_DEP_1) | instskip(NEXT) | instid1(VALU_DEP_4)
	v_cmp_lt_u32_e32 vcc_lo, v25, v24
	v_cndmask_b32_e32 v24, v27, v26, vcc_lo
	s_delay_alu instid0(VALU_DEP_1) | instskip(NEXT) | instid1(VALU_DEP_1)
	v_add_nc_u32_e32 v26, v24, v25
	v_mul_hi_u32 v24, 0xbc8f1391, v26
	s_delay_alu instid0(VALU_DEP_1) | instskip(NEXT) | instid1(VALU_DEP_1)
	v_lshrrev_b32_e32 v24, 15, v24
	v_mul_u32_u24_e32 v25, 0xadc8, v24
	s_delay_alu instid0(VALU_DEP_1) | instskip(NEXT) | instid1(VALU_DEP_1)
	v_sub_nc_u32_e32 v25, v26, v25
	v_mul_lo_u32 v27, 0xbc8f, v25
	v_mul_u32_u24_e32 v25, 0xd47, v24
	v_cvt_f32_u32_e32 v24, v22
	s_delay_alu instid0(VALU_DEP_2) | instskip(SKIP_3) | instid1(VALU_DEP_3)
	v_xor_b32_e32 v22, 0x7fffffff, v25
	v_sub_nc_u32_e32 v32, 0, v25
	v_cmp_lt_u32_e32 vcc_lo, v27, v25
	v_cvt_f32_u32_e32 v25, v23
	v_cndmask_b32_e32 v22, v32, v22, vcc_lo
	s_delay_alu instid0(VALU_DEP_2) | instskip(NEXT) | instid1(VALU_DEP_2)
	v_pk_fma_f32 v[24:25], v[24:25], s[12:13], 0 op_sel_hi:[1,0,0]
	v_dual_add_nc_u32 v23, v22, v27 :: v_dual_add_nc_u32 v22, -1, v26
	s_delay_alu instid0(VALU_DEP_2) | instskip(NEXT) | instid1(VALU_DEP_2)
	v_pk_mul_f32 v[24:25], v[24:25], v[24:25]
	v_add_nc_u32_e32 v27, -1, v23
	s_delay_alu instid0(VALU_DEP_3) | instskip(NEXT) | instid1(VALU_DEP_3)
	v_cvt_f32_u32_e32 v26, v22
	v_add_f32_e32 v22, v24, v25
	s_delay_alu instid0(VALU_DEP_3) | instskip(NEXT) | instid1(VALU_DEP_2)
	v_cvt_f32_u32_e32 v27, v27
	v_cmp_gt_f32_e32 vcc_lo, 0xf800000, v22
	s_delay_alu instid0(VALU_DEP_2) | instskip(SKIP_1) | instid1(VALU_DEP_2)
	v_pk_fma_f32 v[24:25], v[26:27], s[12:13], 0 op_sel_hi:[1,0,0]
	v_mul_f32_e32 v26, 0x4f800000, v22
	v_pk_mul_f32 v[24:25], v[24:25], v[24:25]
	s_delay_alu instid0(VALU_DEP_1) | instskip(NEXT) | instid1(VALU_DEP_1)
	v_add_f32_e32 v24, v24, v25
	v_cmp_gt_f32_e64 s9, 0xf800000, v24
	s_delay_alu instid0(VALU_DEP_4) | instskip(SKIP_1) | instid1(VALU_DEP_1)
	v_cndmask_b32_e32 v22, v22, v26, vcc_lo
	v_mul_f32_e32 v26, 0x4f800000, v24
	v_cndmask_b32_e64 v24, v24, v26, s9
	s_delay_alu instid0(VALU_DEP_3) | instskip(NEXT) | instid1(VALU_DEP_1)
	v_sqrt_f32_e32 v25, v22
	v_sqrt_f32_e32 v33, v24
	s_delay_alu instid0(TRANS32_DEP_2) | instskip(NEXT) | instid1(VALU_DEP_1)
	v_dual_add_nc_u32 v27, -1, v25 :: v_dual_add_nc_u32 v26, 1, v25
	v_fma_f32 v32, -v27, v25, v22
	s_delay_alu instid0(VALU_DEP_1) | instskip(NEXT) | instid1(VALU_DEP_1)
	v_cmp_ge_f32_e64 s10, 0, v32
	v_dual_fma_f32 v34, -v26, v25, v22 :: v_dual_cndmask_b32 v25, v25, v27, s10
	s_delay_alu instid0(VALU_DEP_1)
	v_cmp_lt_f32_e64 s10, 0, v34
	s_delay_alu instid0(TRANS32_DEP_1) | instid1(VALU_DEP_1)
	v_dual_add_nc_u32 v27, -1, v33 :: v_dual_cndmask_b32 v25, v25, v26, s10
	s_delay_alu instid0(VALU_DEP_1) | instskip(NEXT) | instid1(VALU_DEP_1)
	v_dual_add_nc_u32 v26, 1, v33 :: v_dual_fma_f32 v32, -v27, v33, v24
	v_fma_f32 v35, -v26, v33, v24
	s_delay_alu instid0(VALU_DEP_2) | instskip(NEXT) | instid1(VALU_DEP_1)
	v_cmp_ge_f32_e64 s10, 0, v32
	v_cndmask_b32_e64 v27, v33, v27, s10
	s_delay_alu instid0(VALU_DEP_3) | instskip(NEXT) | instid1(VALU_DEP_1)
	v_cmp_lt_f32_e64 s10, 0, v35
	v_cndmask_b32_e64 v26, v27, v26, s10
	v_mul_f32_e32 v34, 0x37800000, v25
	s_delay_alu instid0(VALU_DEP_1) | instskip(SKIP_1) | instid1(VALU_DEP_2)
	v_cndmask_b32_e32 v25, v25, v34, vcc_lo
	v_cmp_class_f32_e64 vcc_lo, v22, 0x260
	v_cndmask_b32_e32 v22, v25, v22, vcc_lo
	v_mul_f32_e32 v25, 0x37800000, v26
	s_delay_alu instid0(VALU_DEP_2) | instskip(NEXT) | instid1(VALU_DEP_2)
	v_cmp_nge_f32_e32 vcc_lo, 1.0, v22
	v_dual_cndmask_b32 v22, v26, v25, s9 :: v_dual_cndmask_b32 v11, v31, v11, vcc_lo
	v_cmp_class_f32_e64 vcc_lo, v24, 0x260
	s_delay_alu instid0(VALU_DEP_2) | instskip(NEXT) | instid1(VALU_DEP_1)
	v_dual_add_f32 v25, 1.0, v11 :: v_dual_cndmask_b32 v22, v22, v24
	v_cmp_nge_f32_e32 vcc_lo, 1.0, v22
	s_delay_alu instid0(VALU_DEP_2)
	v_cndmask_b32_e32 v11, v25, v11, vcc_lo
	s_cbranch_scc1 .LBB27_929
; %bb.930:
	s_delay_alu instid0(VALU_DEP_1) | instskip(NEXT) | instid1(VALU_DEP_1)
	v_mul_f32_e32 v11, 4.0, v11
	v_div_scale_f32 v22, null, 0x459c4000, 0x459c4000, v11
	s_delay_alu instid0(VALU_DEP_1) | instskip(SKIP_1) | instid1(TRANS32_DEP_1)
	v_rcp_f32_e32 v23, v22
	v_nop
	v_fma_f32 v24, -v22, v23, 1.0
	s_delay_alu instid0(VALU_DEP_1) | instskip(SKIP_1) | instid1(VALU_DEP_1)
	v_fmac_f32_e32 v23, v24, v23
	v_div_scale_f32 v24, vcc_lo, v11, 0x459c4000, v11
	v_mul_f32_e32 v25, v24, v23
	s_delay_alu instid0(VALU_DEP_1) | instskip(NEXT) | instid1(VALU_DEP_1)
	v_fma_f32 v26, -v22, v25, v24
	v_fmac_f32_e32 v25, v26, v23
	s_delay_alu instid0(VALU_DEP_1) | instskip(NEXT) | instid1(VALU_DEP_1)
	v_fma_f32 v22, -v22, v25, v24
	v_div_fmas_f32 v22, v22, v23, v25
	s_delay_alu instid0(VALU_DEP_1)
	v_div_fixup_f32 v11, v22, 0x459c4000, v11
.LBB27_931:
	s_or_b32 exec_lo, exec_lo, s22
	v_add_nc_u32_e32 v22, 0xa00, v50
	s_delay_alu instid0(VALU_DEP_1)
	v_cmp_lt_u32_e64 s9, v22, v29
	s_and_saveexec_b32 s22, s9
	s_cbranch_execz .LBB27_951
; %bb.932:
	v_dual_mov_b32 v23, 1 :: v_dual_add_nc_u32 v12, v30, v22
	s_mov_b32 s11, 0
	s_mov_b32 s23, exec_lo
	s_delay_alu instid0(VALU_DEP_1) | instskip(NEXT) | instid1(VALU_DEP_1)
	v_mul_lo_u32 v22, 0x1388, v12
	v_cmpx_ne_u32_e32 0, v22
	s_cbranch_execz .LBB27_948
; %bb.933:
	v_mov_b32_e32 v23, 0
	v_mov_b64_e32 v[26:27], 1
	s_mov_b64 s[20:21], 0xbc8f
	s_mov_b64 s[12:13], 0xfffffffd
	;; [unrolled: 1-line block ×3, first 2 shown]
	v_mov_b64_e32 v[24:25], v[22:23]
	s_mov_b64 s[16:17], 0x80000001
	s_mov_b32 s24, 0
	s_branch .LBB27_935
.LBB27_934:                             ;   in Loop: Header=BB27_935 Depth=1
	s_or_b32 exec_lo, exec_lo, s10
	s_mul_u64 s[20:21], s[20:21], s[20:21]
	s_mov_b32 s27, s11
	s_and_b64 s[42:43], s[20:21], s[12:13]
	s_mov_b32 s10, s21
	s_mul_u64 s[44:45], s[42:43], 3
	s_mul_u64 s[46:47], s[10:11], 3
	s_mov_b32 s26, s45
	s_mul_u64 s[42:43], s[42:43], s[16:17]
	s_add_nc_u64 s[26:27], s[46:47], s[26:27]
	v_lshrrev_b64 v[32:33], 1, v[24:25]
	s_and_b64 s[46:47], s[26:27], s[14:15]
	s_mov_b32 s45, s11
	s_add_nc_u64 s[42:43], s[42:43], s[46:47]
	s_mov_b32 s57, s11
	s_mov_b32 s44, s27
	s_mov_b32 s56, s43
	s_mul_u64 s[42:43], s[10:11], s[16:17]
	s_add_nc_u64 s[26:27], s[44:45], s[56:57]
	v_cmp_gt_u64_e32 vcc_lo, 2, v[24:25]
	s_add_nc_u64 s[26:27], s[42:43], s[26:27]
	v_mov_b64_e32 v[24:25], v[32:33]
	s_lshr_b64 s[26:27], s[26:27], 30
	s_delay_alu instid0(SALU_CYCLE_1)
	s_mul_u64 s[26:27], s[26:27], 0x7fffffff
	s_or_b32 s24, vcc_lo, s24
	s_sub_nc_u64 s[20:21], s[20:21], s[26:27]
	s_and_not1_b32 exec_lo, exec_lo, s24
	s_cbranch_execz .LBB27_947
.LBB27_935:                             ; =>This Inner Loop Header: Depth=1
	s_delay_alu instid0(VALU_DEP_1) | instskip(SKIP_1) | instid1(VALU_DEP_1)
	v_and_b32_e32 v12, 1, v24
	s_mov_b32 s10, exec_lo
	v_cmpx_eq_u32_e32 1, v12
	s_cbranch_execz .LBB27_934
; %bb.936:                              ;   in Loop: Header=BB27_935 Depth=1
	v_mul_u64_e32 v[26:27], s[20:21], v[26:27]
	s_delay_alu instid0(VALU_DEP_1) | instskip(NEXT) | instid1(VALU_DEP_1)
	v_mov_b32_e32 v22, v26
	v_mul_u64_e32 v[32:33], 5, v[22:23]
	s_delay_alu instid0(VALU_DEP_1) | instskip(NEXT) | instid1(VALU_DEP_1)
	v_mov_b32_e32 v22, v33
	v_mad_nc_u64_u32 v[32:33], v27, 5, v[22:23]
	s_delay_alu instid0(VALU_DEP_1) | instskip(NEXT) | instid1(VALU_DEP_1)
	v_dual_mov_b32 v22, v33 :: v_dual_mov_b32 v33, v23
	v_mad_nc_u64_u32 v[32:33], v26, 2, v[32:33]
	s_delay_alu instid0(VALU_DEP_1) | instskip(NEXT) | instid1(VALU_DEP_1)
	v_dual_mov_b32 v32, v33 :: v_dual_mov_b32 v33, v23
	v_add_nc_u64_e32 v[32:33], v[22:23], v[32:33]
	s_delay_alu instid0(VALU_DEP_1) | instskip(NEXT) | instid1(VALU_DEP_1)
	v_mad_nc_u64_u32 v[32:33], v27, 2, v[32:33]
	v_sub_nc_u64_e32 v[34:35], v[26:27], v[32:33]
	s_delay_alu instid0(VALU_DEP_1) | instskip(NEXT) | instid1(VALU_DEP_1)
	v_lshrrev_b64 v[34:35], 1, v[34:35]
	v_add_nc_u64_e32 v[32:33], v[34:35], v[32:33]
	s_delay_alu instid0(VALU_DEP_1) | instskip(NEXT) | instid1(VALU_DEP_1)
	v_lshrrev_b64 v[32:33], 30, v[32:33]
	v_mul_u64_e32 v[32:33], 0x7fffffff, v[32:33]
	s_delay_alu instid0(VALU_DEP_1)
	v_sub_nc_u64_e32 v[26:27], v[26:27], v[32:33]
	s_branch .LBB27_934
.LBB27_937:
	s_or_b32 exec_lo, exec_lo, s21
	v_add_min_u32_e64 v9, 0x80000001, v48, v48
	s_delay_alu instid0(VALU_DEP_1)
	v_add_min_u32_e64 v37, 0x80000001, v9, v9
.LBB27_938:
	s_or_b32 exec_lo, exec_lo, s9
	v_mov_b32_e32 v9, 0
	s_movk_i32 s11, 0x1388
	s_brev_b32 s12, 12
.LBB27_939:                             ; =>This Inner Loop Header: Depth=1
	v_mul_hi_u32 v36, 0xbc8f1391, v37
	s_add_co_i32 s11, s11, -2
	s_delay_alu instid0(VALU_DEP_2) | instskip(SKIP_1) | instid1(VALU_DEP_2)
	v_add_f32_e32 v54, 1.0, v9
	s_cmp_lg_u32 s11, 0
	v_lshrrev_b32_e32 v36, 15, v36
	s_delay_alu instid0(VALU_DEP_1) | instskip(NEXT) | instid1(VALU_DEP_1)
	v_mul_u32_u24_e32 v38, 0xadc8, v36
	v_sub_nc_u32_e32 v37, v37, v38
	v_mul_u32_u24_e32 v36, 0xd47, v36
	s_delay_alu instid0(VALU_DEP_2) | instskip(NEXT) | instid1(VALU_DEP_2)
	v_mul_lo_u32 v37, 0xbc8f, v37
	v_xor_b32_e32 v38, 0x7fffffff, v36
	v_sub_nc_u32_e32 v39, 0, v36
	s_delay_alu instid0(VALU_DEP_3) | instskip(NEXT) | instid1(VALU_DEP_2)
	v_cmp_lt_u32_e32 vcc_lo, v37, v36
	v_cndmask_b32_e32 v36, v39, v38, vcc_lo
	s_delay_alu instid0(VALU_DEP_1) | instskip(NEXT) | instid1(VALU_DEP_1)
	v_add_nc_u32_e32 v36, v36, v37
	v_mul_hi_u32 v37, 0xbc8f1391, v36
	s_delay_alu instid0(VALU_DEP_1) | instskip(NEXT) | instid1(VALU_DEP_1)
	v_lshrrev_b32_e32 v37, 15, v37
	v_mul_u32_u24_e32 v38, 0xadc8, v37
	v_mul_u32_u24_e32 v37, 0xd47, v37
	s_delay_alu instid0(VALU_DEP_1) | instskip(SKIP_2) | instid1(VALU_DEP_3)
	v_dual_sub_nc_u32 v38, v36, v38 :: v_dual_sub_nc_u32 v48, 0, v37
	v_xor_b32_e32 v39, 0x7fffffff, v37
	v_add_nc_u32_e32 v36, -1, v36
	v_mul_lo_u32 v38, 0xbc8f, v38
	s_delay_alu instid0(VALU_DEP_1) | instskip(NEXT) | instid1(VALU_DEP_4)
	v_cmp_lt_u32_e32 vcc_lo, v38, v37
	v_cndmask_b32_e32 v37, v48, v39, vcc_lo
	s_delay_alu instid0(VALU_DEP_1) | instskip(NEXT) | instid1(VALU_DEP_1)
	v_add_nc_u32_e32 v37, v37, v38
	v_mul_hi_u32 v38, 0xbc8f1391, v37
	s_delay_alu instid0(VALU_DEP_1) | instskip(NEXT) | instid1(VALU_DEP_1)
	v_lshrrev_b32_e32 v38, 15, v38
	v_mul_u32_u24_e32 v39, 0xadc8, v38
	v_mul_u32_u24_e32 v38, 0xd47, v38
	s_delay_alu instid0(VALU_DEP_1) | instskip(SKIP_2) | instid1(VALU_DEP_3)
	v_dual_sub_nc_u32 v49, 0, v38 :: v_dual_sub_nc_u32 v39, v37, v39
	v_xor_b32_e32 v48, 0x7fffffff, v38
	v_add_nc_u32_e32 v37, -1, v37
	v_mul_lo_u32 v39, 0xbc8f, v39
	s_delay_alu instid0(VALU_DEP_1) | instskip(NEXT) | instid1(VALU_DEP_4)
	v_cmp_lt_u32_e32 vcc_lo, v39, v38
	v_cndmask_b32_e32 v38, v49, v48, vcc_lo
	s_delay_alu instid0(VALU_DEP_1) | instskip(NEXT) | instid1(VALU_DEP_1)
	v_add_nc_u32_e32 v48, v38, v39
	v_mul_hi_u32 v38, 0xbc8f1391, v48
	s_delay_alu instid0(VALU_DEP_1) | instskip(NEXT) | instid1(VALU_DEP_1)
	v_lshrrev_b32_e32 v38, 15, v38
	v_mul_u32_u24_e32 v39, 0xadc8, v38
	s_delay_alu instid0(VALU_DEP_1) | instskip(NEXT) | instid1(VALU_DEP_1)
	v_sub_nc_u32_e32 v39, v48, v39
	v_mul_lo_u32 v49, 0xbc8f, v39
	v_mul_u32_u24_e32 v39, 0xd47, v38
	v_cvt_f32_u32_e32 v38, v36
	s_delay_alu instid0(VALU_DEP_2) | instskip(SKIP_3) | instid1(VALU_DEP_3)
	v_xor_b32_e32 v36, 0x7fffffff, v39
	v_sub_nc_u32_e32 v55, 0, v39
	v_cmp_lt_u32_e32 vcc_lo, v49, v39
	v_cvt_f32_u32_e32 v39, v37
	v_cndmask_b32_e32 v36, v55, v36, vcc_lo
	s_delay_alu instid0(VALU_DEP_2) | instskip(NEXT) | instid1(VALU_DEP_2)
	v_pk_fma_f32 v[38:39], v[38:39], s[12:13], 0 op_sel_hi:[1,0,0]
	v_dual_add_nc_u32 v37, v36, v49 :: v_dual_add_nc_u32 v36, -1, v48
	s_delay_alu instid0(VALU_DEP_2) | instskip(NEXT) | instid1(VALU_DEP_2)
	v_pk_mul_f32 v[38:39], v[38:39], v[38:39]
	v_add_nc_u32_e32 v49, -1, v37
	s_delay_alu instid0(VALU_DEP_3) | instskip(NEXT) | instid1(VALU_DEP_3)
	v_cvt_f32_u32_e32 v48, v36
	v_add_f32_e32 v36, v38, v39
	s_delay_alu instid0(VALU_DEP_3) | instskip(NEXT) | instid1(VALU_DEP_2)
	v_cvt_f32_u32_e32 v49, v49
	v_cmp_gt_f32_e32 vcc_lo, 0xf800000, v36
	s_delay_alu instid0(VALU_DEP_2) | instskip(SKIP_1) | instid1(VALU_DEP_2)
	v_pk_fma_f32 v[38:39], v[48:49], s[12:13], 0 op_sel_hi:[1,0,0]
	v_mul_f32_e32 v48, 0x4f800000, v36
	v_pk_mul_f32 v[38:39], v[38:39], v[38:39]
	s_delay_alu instid0(VALU_DEP_1) | instskip(NEXT) | instid1(VALU_DEP_1)
	v_add_f32_e32 v38, v38, v39
	v_cmp_gt_f32_e64 s9, 0xf800000, v38
	s_delay_alu instid0(VALU_DEP_4) | instskip(SKIP_1) | instid1(VALU_DEP_1)
	v_cndmask_b32_e32 v36, v36, v48, vcc_lo
	v_mul_f32_e32 v48, 0x4f800000, v38
	v_cndmask_b32_e64 v38, v38, v48, s9
	s_delay_alu instid0(VALU_DEP_3) | instskip(NEXT) | instid1(VALU_DEP_1)
	v_sqrt_f32_e32 v39, v36
	v_sqrt_f32_e32 v64, v38
	s_delay_alu instid0(TRANS32_DEP_2) | instskip(NEXT) | instid1(VALU_DEP_1)
	v_dual_add_nc_u32 v49, -1, v39 :: v_dual_add_nc_u32 v48, 1, v39
	v_fma_f32 v55, -v49, v39, v36
	s_delay_alu instid0(VALU_DEP_1) | instskip(NEXT) | instid1(VALU_DEP_1)
	v_cmp_ge_f32_e64 s10, 0, v55
	v_dual_fma_f32 v65, -v48, v39, v36 :: v_dual_cndmask_b32 v39, v39, v49, s10
	s_delay_alu instid0(VALU_DEP_1) | instskip(NEXT) | instid1(TRANS32_DEP_1)
	v_cmp_lt_f32_e64 s10, 0, v65
	v_add_nc_u32_e32 v49, -1, v64
	s_delay_alu instid0(VALU_DEP_2) | instskip(NEXT) | instid1(VALU_DEP_2)
	v_cndmask_b32_e64 v39, v39, v48, s10
	v_dual_add_nc_u32 v48, 1, v64 :: v_dual_fma_f32 v55, -v49, v64, v38
	s_delay_alu instid0(VALU_DEP_1) | instskip(NEXT) | instid1(VALU_DEP_1)
	v_cmp_ge_f32_e64 s10, 0, v55
	v_cndmask_b32_e64 v49, v64, v49, s10
	s_delay_alu instid0(VALU_DEP_4) | instskip(NEXT) | instid1(VALU_DEP_1)
	v_mul_f32_e32 v65, 0x37800000, v39
	v_cndmask_b32_e32 v39, v39, v65, vcc_lo
	v_cmp_class_f32_e64 vcc_lo, v36, 0x260
	s_delay_alu instid0(VALU_DEP_2) | instskip(NEXT) | instid1(VALU_DEP_1)
	v_cndmask_b32_e32 v36, v39, v36, vcc_lo
	v_cmp_nge_f32_e32 vcc_lo, 1.0, v36
	s_delay_alu instid0(VALU_DEP_3) | instskip(NEXT) | instid1(VALU_DEP_1)
	v_dual_fma_f32 v66, -v48, v64, v38 :: v_dual_cndmask_b32 v9, v54, v9, vcc_lo
	v_cmp_lt_f32_e64 s10, 0, v66
	v_cmp_class_f32_e64 vcc_lo, v38, 0x260
	s_delay_alu instid0(VALU_DEP_2) | instskip(NEXT) | instid1(VALU_DEP_1)
	v_cndmask_b32_e64 v48, v49, v48, s10
	v_mul_f32_e32 v39, 0x37800000, v48
	s_delay_alu instid0(VALU_DEP_1) | instskip(NEXT) | instid1(VALU_DEP_1)
	v_dual_cndmask_b32 v36, v48, v39, s9 :: v_dual_add_f32 v39, 1.0, v9
	v_cndmask_b32_e32 v36, v36, v38, vcc_lo
	s_delay_alu instid0(VALU_DEP_1) | instskip(NEXT) | instid1(VALU_DEP_3)
	v_cmp_nge_f32_e32 vcc_lo, 1.0, v36
	v_cndmask_b32_e32 v9, v39, v9, vcc_lo
	s_cbranch_scc1 .LBB27_939
; %bb.940:
	s_delay_alu instid0(VALU_DEP_1) | instskip(NEXT) | instid1(VALU_DEP_1)
	v_mul_f32_e32 v9, 4.0, v9
	v_div_scale_f32 v36, null, 0x459c4000, 0x459c4000, v9
	s_delay_alu instid0(VALU_DEP_1) | instskip(SKIP_1) | instid1(TRANS32_DEP_1)
	v_rcp_f32_e32 v37, v36
	v_nop
	v_fma_f32 v38, -v36, v37, 1.0
	s_delay_alu instid0(VALU_DEP_1) | instskip(SKIP_1) | instid1(VALU_DEP_1)
	v_fmac_f32_e32 v37, v38, v37
	v_div_scale_f32 v38, vcc_lo, v9, 0x459c4000, v9
	v_mul_f32_e32 v39, v38, v37
	s_delay_alu instid0(VALU_DEP_1) | instskip(NEXT) | instid1(VALU_DEP_1)
	v_fma_f32 v48, -v36, v39, v38
	v_fmac_f32_e32 v39, v48, v37
	s_delay_alu instid0(VALU_DEP_1) | instskip(NEXT) | instid1(VALU_DEP_1)
	v_fma_f32 v36, -v36, v39, v38
	v_div_fmas_f32 v36, v36, v37, v39
	s_delay_alu instid0(VALU_DEP_1)
	v_div_fixup_f32 v9, v36, 0x459c4000, v9
.LBB27_941:
	s_or_b32 exec_lo, exec_lo, s20
	v_add_nc_u32_e32 v36, 0xa00, v50
	s_delay_alu instid0(VALU_DEP_1)
	v_cmp_lt_u32_e64 s9, v36, v52
	s_and_saveexec_b32 s20, s9
	s_cbranch_execz .LBB27_961
; %bb.942:
	v_dual_mov_b32 v37, 1 :: v_dual_add_nc_u32 v10, v53, v36
	s_mov_b32 s11, 0
	s_mov_b32 s21, exec_lo
	s_delay_alu instid0(VALU_DEP_1) | instskip(NEXT) | instid1(VALU_DEP_1)
	v_mul_lo_u32 v36, 0x1388, v10
	v_cmpx_ne_u32_e32 0, v36
	s_cbranch_execz .LBB27_958
; %bb.943:
	v_mov_b32_e32 v37, 0
	v_mov_b64_e32 v[48:49], 1
	s_mov_b64 s[18:19], 0xbc8f
	s_mov_b64 s[12:13], 0xfffffffd
	;; [unrolled: 1-line block ×3, first 2 shown]
	v_mov_b64_e32 v[38:39], v[36:37]
	s_mov_b64 s[16:17], 0x80000001
	s_mov_b32 s22, 0
	s_branch .LBB27_945
.LBB27_944:                             ;   in Loop: Header=BB27_945 Depth=1
	s_or_b32 exec_lo, exec_lo, s10
	s_mul_u64 s[18:19], s[18:19], s[18:19]
	s_mov_b32 s25, s11
	s_and_b64 s[26:27], s[18:19], s[12:13]
	s_mov_b32 s10, s19
	s_mul_u64 s[28:29], s[26:27], 3
	s_mul_u64 s[40:41], s[10:11], 3
	s_mov_b32 s24, s29
	s_mul_u64 s[26:27], s[26:27], s[16:17]
	s_add_nc_u64 s[24:25], s[40:41], s[24:25]
	v_lshrrev_b64 v[54:55], 1, v[38:39]
	s_and_b64 s[40:41], s[24:25], s[14:15]
	s_mov_b32 s29, s11
	s_add_nc_u64 s[26:27], s[26:27], s[40:41]
	s_mov_b32 s43, s11
	s_mov_b32 s28, s25
	;; [unrolled: 1-line block ×3, first 2 shown]
	s_mul_u64 s[26:27], s[10:11], s[16:17]
	s_add_nc_u64 s[24:25], s[28:29], s[42:43]
	v_cmp_gt_u64_e32 vcc_lo, 2, v[38:39]
	s_add_nc_u64 s[24:25], s[26:27], s[24:25]
	v_mov_b64_e32 v[38:39], v[54:55]
	s_lshr_b64 s[24:25], s[24:25], 30
	s_delay_alu instid0(SALU_CYCLE_1)
	s_mul_u64 s[24:25], s[24:25], 0x7fffffff
	s_or_b32 s22, vcc_lo, s22
	s_sub_nc_u64 s[18:19], s[18:19], s[24:25]
	s_and_not1_b32 exec_lo, exec_lo, s22
	s_cbranch_execz .LBB27_957
.LBB27_945:                             ; =>This Inner Loop Header: Depth=1
	s_delay_alu instid0(VALU_DEP_1) | instskip(SKIP_1) | instid1(VALU_DEP_1)
	v_and_b32_e32 v10, 1, v38
	s_mov_b32 s10, exec_lo
	v_cmpx_eq_u32_e32 1, v10
	s_cbranch_execz .LBB27_944
; %bb.946:                              ;   in Loop: Header=BB27_945 Depth=1
	v_mul_u64_e32 v[48:49], s[18:19], v[48:49]
	s_delay_alu instid0(VALU_DEP_1) | instskip(NEXT) | instid1(VALU_DEP_1)
	v_mov_b32_e32 v36, v48
	v_mul_u64_e32 v[54:55], 5, v[36:37]
	s_delay_alu instid0(VALU_DEP_1) | instskip(NEXT) | instid1(VALU_DEP_1)
	v_mov_b32_e32 v36, v55
	v_mad_nc_u64_u32 v[54:55], v49, 5, v[36:37]
	s_delay_alu instid0(VALU_DEP_1) | instskip(NEXT) | instid1(VALU_DEP_1)
	v_dual_mov_b32 v36, v55 :: v_dual_mov_b32 v55, v37
	v_mad_nc_u64_u32 v[54:55], v48, 2, v[54:55]
	s_delay_alu instid0(VALU_DEP_1) | instskip(NEXT) | instid1(VALU_DEP_1)
	v_dual_mov_b32 v54, v55 :: v_dual_mov_b32 v55, v37
	v_add_nc_u64_e32 v[54:55], v[36:37], v[54:55]
	s_delay_alu instid0(VALU_DEP_1) | instskip(NEXT) | instid1(VALU_DEP_1)
	v_mad_nc_u64_u32 v[54:55], v49, 2, v[54:55]
	v_sub_nc_u64_e32 v[64:65], v[48:49], v[54:55]
	s_delay_alu instid0(VALU_DEP_1) | instskip(NEXT) | instid1(VALU_DEP_1)
	v_lshrrev_b64 v[64:65], 1, v[64:65]
	v_add_nc_u64_e32 v[54:55], v[64:65], v[54:55]
	s_delay_alu instid0(VALU_DEP_1) | instskip(NEXT) | instid1(VALU_DEP_1)
	v_lshrrev_b64 v[54:55], 30, v[54:55]
	v_mul_u64_e32 v[54:55], 0x7fffffff, v[54:55]
	s_delay_alu instid0(VALU_DEP_1)
	v_sub_nc_u64_e32 v[48:49], v[48:49], v[54:55]
	s_branch .LBB27_944
.LBB27_947:
	s_or_b32 exec_lo, exec_lo, s24
	v_add_min_u32_e64 v12, 0x80000001, v26, v26
	s_delay_alu instid0(VALU_DEP_1)
	v_add_min_u32_e64 v23, 0x80000001, v12, v12
.LBB27_948:
	s_or_b32 exec_lo, exec_lo, s23
	v_mov_b32_e32 v12, 0
	s_movk_i32 s13, 0x1388
	s_brev_b32 s12, 12
.LBB27_949:                             ; =>This Inner Loop Header: Depth=1
	v_mul_hi_u32 v22, 0xbc8f1391, v23
	s_delay_alu instid0(VALU_DEP_1) | instskip(NEXT) | instid1(VALU_DEP_1)
	v_dual_add_f32 v31, 1.0, v12 :: v_dual_lshrrev_b32 v22, 15, v22
	v_mul_u32_u24_e32 v24, 0xadc8, v22
	s_delay_alu instid0(VALU_DEP_1) | instskip(SKIP_1) | instid1(VALU_DEP_2)
	v_sub_nc_u32_e32 v23, v23, v24
	v_mul_u32_u24_e32 v22, 0xd47, v22
	v_mul_lo_u32 v23, 0xbc8f, v23
	s_delay_alu instid0(VALU_DEP_2) | instskip(SKIP_1) | instid1(VALU_DEP_3)
	v_xor_b32_e32 v24, 0x7fffffff, v22
	v_sub_nc_u32_e32 v25, 0, v22
	v_cmp_lt_u32_e32 vcc_lo, v23, v22
	s_delay_alu instid0(VALU_DEP_2) | instskip(NEXT) | instid1(VALU_DEP_1)
	v_cndmask_b32_e32 v22, v25, v24, vcc_lo
	v_add_nc_u32_e32 v22, v22, v23
	s_delay_alu instid0(VALU_DEP_1) | instskip(NEXT) | instid1(VALU_DEP_1)
	v_mul_hi_u32 v23, 0xbc8f1391, v22
	v_lshrrev_b32_e32 v23, 15, v23
	s_delay_alu instid0(VALU_DEP_1) | instskip(SKIP_1) | instid1(VALU_DEP_1)
	v_mul_u32_u24_e32 v24, 0xadc8, v23
	v_mul_u32_u24_e32 v23, 0xd47, v23
	v_dual_sub_nc_u32 v24, v22, v24 :: v_dual_sub_nc_u32 v26, 0, v23
	v_xor_b32_e32 v25, 0x7fffffff, v23
	v_add_nc_u32_e32 v22, -1, v22
	s_delay_alu instid0(VALU_DEP_3) | instskip(NEXT) | instid1(VALU_DEP_1)
	v_mul_lo_u32 v24, 0xbc8f, v24
	v_cmp_lt_u32_e32 vcc_lo, v24, v23
	s_delay_alu instid0(VALU_DEP_4) | instskip(NEXT) | instid1(VALU_DEP_1)
	v_cndmask_b32_e32 v23, v26, v25, vcc_lo
	v_add_nc_u32_e32 v23, v23, v24
	s_delay_alu instid0(VALU_DEP_1) | instskip(NEXT) | instid1(VALU_DEP_1)
	v_mul_hi_u32 v24, 0xbc8f1391, v23
	v_lshrrev_b32_e32 v24, 15, v24
	s_delay_alu instid0(VALU_DEP_1) | instskip(SKIP_1) | instid1(VALU_DEP_1)
	v_mul_u32_u24_e32 v25, 0xadc8, v24
	v_mul_u32_u24_e32 v24, 0xd47, v24
	v_dual_sub_nc_u32 v27, 0, v24 :: v_dual_sub_nc_u32 v25, v23, v25
	v_xor_b32_e32 v26, 0x7fffffff, v24
	v_add_nc_u32_e32 v23, -1, v23
	s_delay_alu instid0(VALU_DEP_3) | instskip(NEXT) | instid1(VALU_DEP_1)
	v_mul_lo_u32 v25, 0xbc8f, v25
	v_cmp_lt_u32_e32 vcc_lo, v25, v24
	s_delay_alu instid0(VALU_DEP_4) | instskip(NEXT) | instid1(VALU_DEP_1)
	v_cndmask_b32_e32 v24, v27, v26, vcc_lo
	v_add_nc_u32_e32 v26, v24, v25
	s_delay_alu instid0(VALU_DEP_1) | instskip(NEXT) | instid1(VALU_DEP_1)
	v_mul_hi_u32 v24, 0xbc8f1391, v26
	v_lshrrev_b32_e32 v24, 15, v24
	s_delay_alu instid0(VALU_DEP_1) | instskip(NEXT) | instid1(VALU_DEP_1)
	v_mul_u32_u24_e32 v25, 0xadc8, v24
	v_sub_nc_u32_e32 v25, v26, v25
	s_delay_alu instid0(VALU_DEP_1) | instskip(SKIP_2) | instid1(VALU_DEP_2)
	v_mul_lo_u32 v27, 0xbc8f, v25
	v_mul_u32_u24_e32 v25, 0xd47, v24
	v_cvt_f32_u32_e32 v24, v22
	v_xor_b32_e32 v22, 0x7fffffff, v25
	v_sub_nc_u32_e32 v32, 0, v25
	v_cmp_lt_u32_e32 vcc_lo, v27, v25
	v_cvt_f32_u32_e32 v25, v23
	s_delay_alu instid0(VALU_DEP_3) | instskip(NEXT) | instid1(VALU_DEP_2)
	v_cndmask_b32_e32 v22, v32, v22, vcc_lo
	v_pk_fma_f32 v[24:25], v[24:25], s[12:13], 0 op_sel_hi:[1,0,0]
	s_delay_alu instid0(VALU_DEP_2) | instskip(NEXT) | instid1(VALU_DEP_2)
	v_dual_add_nc_u32 v23, v22, v27 :: v_dual_add_nc_u32 v22, -1, v26
	v_pk_mul_f32 v[24:25], v[24:25], v[24:25]
	s_delay_alu instid0(VALU_DEP_2) | instskip(NEXT) | instid1(VALU_DEP_3)
	v_add_nc_u32_e32 v27, -1, v23
	v_cvt_f32_u32_e32 v26, v22
	s_delay_alu instid0(VALU_DEP_3) | instskip(NEXT) | instid1(VALU_DEP_3)
	v_add_f32_e32 v22, v24, v25
	v_cvt_f32_u32_e32 v27, v27
	s_delay_alu instid0(VALU_DEP_2) | instskip(NEXT) | instid1(VALU_DEP_2)
	v_cmp_gt_f32_e32 vcc_lo, 0xf800000, v22
	v_pk_fma_f32 v[24:25], v[26:27], s[12:13], 0 op_sel_hi:[1,0,0]
	v_mul_f32_e32 v26, 0x4f800000, v22
	s_add_co_i32 s13, s13, -2
	s_delay_alu instid0(SALU_CYCLE_1) | instskip(NEXT) | instid1(VALU_DEP_2)
	s_cmp_lg_u32 s13, 0
	v_pk_mul_f32 v[24:25], v[24:25], v[24:25]
	s_delay_alu instid0(VALU_DEP_1) | instskip(NEXT) | instid1(VALU_DEP_1)
	v_add_f32_e32 v24, v24, v25
	v_cmp_gt_f32_e64 s10, 0xf800000, v24
	v_cndmask_b32_e32 v22, v22, v26, vcc_lo
	v_mul_f32_e32 v26, 0x4f800000, v24
	s_delay_alu instid0(VALU_DEP_1) | instskip(NEXT) | instid1(VALU_DEP_3)
	v_cndmask_b32_e64 v24, v24, v26, s10
	v_sqrt_f32_e32 v25, v22
	s_delay_alu instid0(VALU_DEP_1) | instskip(NEXT) | instid1(TRANS32_DEP_2)
	v_sqrt_f32_e32 v33, v24
	v_dual_add_nc_u32 v27, -1, v25 :: v_dual_add_nc_u32 v26, 1, v25
	s_delay_alu instid0(VALU_DEP_1) | instskip(NEXT) | instid1(VALU_DEP_1)
	v_fma_f32 v32, -v27, v25, v22
	v_cmp_ge_f32_e64 s11, 0, v32
	s_delay_alu instid0(VALU_DEP_1) | instskip(NEXT) | instid1(VALU_DEP_1)
	v_dual_fma_f32 v34, -v26, v25, v22 :: v_dual_cndmask_b32 v25, v25, v27, s11
	v_cmp_lt_f32_e64 s11, 0, v34
	s_delay_alu instid0(TRANS32_DEP_1) | instid1(VALU_DEP_1)
	v_dual_add_nc_u32 v27, -1, v33 :: v_dual_cndmask_b32 v25, v25, v26, s11
	s_delay_alu instid0(VALU_DEP_1) | instskip(NEXT) | instid1(VALU_DEP_1)
	v_dual_add_nc_u32 v26, 1, v33 :: v_dual_fma_f32 v32, -v27, v33, v24
	v_fma_f32 v35, -v26, v33, v24
	s_delay_alu instid0(VALU_DEP_2) | instskip(NEXT) | instid1(VALU_DEP_1)
	v_cmp_ge_f32_e64 s11, 0, v32
	v_cndmask_b32_e64 v27, v33, v27, s11
	s_delay_alu instid0(VALU_DEP_3) | instskip(NEXT) | instid1(VALU_DEP_1)
	v_cmp_lt_f32_e64 s11, 0, v35
	v_cndmask_b32_e64 v26, v27, v26, s11
	v_mul_f32_e32 v34, 0x37800000, v25
	s_delay_alu instid0(VALU_DEP_1) | instskip(SKIP_1) | instid1(VALU_DEP_2)
	v_cndmask_b32_e32 v25, v25, v34, vcc_lo
	v_cmp_class_f32_e64 vcc_lo, v22, 0x260
	v_cndmask_b32_e32 v22, v25, v22, vcc_lo
	v_mul_f32_e32 v25, 0x37800000, v26
	s_delay_alu instid0(VALU_DEP_2) | instskip(NEXT) | instid1(VALU_DEP_2)
	v_cmp_nge_f32_e32 vcc_lo, 1.0, v22
	v_dual_cndmask_b32 v22, v26, v25, s10 :: v_dual_cndmask_b32 v12, v31, v12, vcc_lo
	v_cmp_class_f32_e64 vcc_lo, v24, 0x260
	s_delay_alu instid0(VALU_DEP_2) | instskip(NEXT) | instid1(VALU_DEP_3)
	v_add_f32_e32 v25, 1.0, v12
	v_cndmask_b32_e32 v22, v22, v24, vcc_lo
	s_delay_alu instid0(VALU_DEP_1) | instskip(NEXT) | instid1(VALU_DEP_3)
	v_cmp_nge_f32_e32 vcc_lo, 1.0, v22
	v_cndmask_b32_e32 v12, v25, v12, vcc_lo
	s_cbranch_scc1 .LBB27_949
; %bb.950:
	s_delay_alu instid0(VALU_DEP_1) | instskip(NEXT) | instid1(VALU_DEP_1)
	v_mul_f32_e32 v12, 4.0, v12
	v_div_scale_f32 v22, null, 0x459c4000, 0x459c4000, v12
	s_delay_alu instid0(VALU_DEP_1) | instskip(SKIP_1) | instid1(TRANS32_DEP_1)
	v_rcp_f32_e32 v23, v22
	v_nop
	v_fma_f32 v24, -v22, v23, 1.0
	s_delay_alu instid0(VALU_DEP_1) | instskip(SKIP_1) | instid1(VALU_DEP_1)
	v_fmac_f32_e32 v23, v24, v23
	v_div_scale_f32 v24, vcc_lo, v12, 0x459c4000, v12
	v_mul_f32_e32 v25, v24, v23
	s_delay_alu instid0(VALU_DEP_1) | instskip(NEXT) | instid1(VALU_DEP_1)
	v_fma_f32 v26, -v22, v25, v24
	v_fmac_f32_e32 v25, v26, v23
	s_delay_alu instid0(VALU_DEP_1) | instskip(NEXT) | instid1(VALU_DEP_1)
	v_fma_f32 v22, -v22, v25, v24
	v_div_fmas_f32 v22, v22, v23, v25
	s_delay_alu instid0(VALU_DEP_1)
	v_div_fixup_f32 v12, v22, 0x459c4000, v12
.LBB27_951:
	s_or_b32 exec_lo, exec_lo, s22
	v_add_nc_u32_e32 v22, 0xb00, v50
	s_delay_alu instid0(VALU_DEP_1)
	v_cmp_lt_u32_e64 s10, v22, v29
	s_and_saveexec_b32 s24, s10
	s_cbranch_execz .LBB27_971
; %bb.952:
	v_dual_add_nc_u32 v13, v30, v22 :: v_dual_mov_b32 v23, 1
	s_mov_b32 s13, 0
	s_mov_b32 s11, exec_lo
	s_delay_alu instid0(VALU_DEP_1) | instskip(NEXT) | instid1(VALU_DEP_1)
	v_mul_lo_u32 v22, 0x1388, v13
	v_cmpx_ne_u32_e32 0, v22
	s_cbranch_execz .LBB27_968
; %bb.953:
	v_mov_b32_e32 v23, 0
	v_mov_b64_e32 v[26:27], 1
	s_mov_b64 s[22:23], 0xbc8f
	s_mov_b64 s[14:15], 0xfffffffd
	;; [unrolled: 1-line block ×3, first 2 shown]
	v_mov_b64_e32 v[24:25], v[22:23]
	s_mov_b64 s[20:21], 0x80000001
	s_mov_b32 s25, 0
	s_branch .LBB27_955
.LBB27_954:                             ;   in Loop: Header=BB27_955 Depth=1
	s_or_b32 exec_lo, exec_lo, s12
	s_mul_u64 s[22:23], s[22:23], s[22:23]
	s_mov_b32 s27, s13
	s_and_b64 s[42:43], s[22:23], s[14:15]
	s_mov_b32 s12, s23
	s_mul_u64 s[44:45], s[42:43], 3
	s_mul_u64 s[46:47], s[12:13], 3
	s_mov_b32 s26, s45
	s_mul_u64 s[42:43], s[42:43], s[20:21]
	s_add_nc_u64 s[26:27], s[46:47], s[26:27]
	v_lshrrev_b64 v[32:33], 1, v[24:25]
	s_and_b64 s[46:47], s[26:27], s[16:17]
	s_mov_b32 s45, s13
	s_add_nc_u64 s[42:43], s[42:43], s[46:47]
	s_mov_b32 s57, s13
	s_mov_b32 s44, s27
	;; [unrolled: 1-line block ×3, first 2 shown]
	s_mul_u64 s[42:43], s[12:13], s[20:21]
	s_add_nc_u64 s[26:27], s[44:45], s[56:57]
	v_cmp_gt_u64_e32 vcc_lo, 2, v[24:25]
	s_add_nc_u64 s[26:27], s[42:43], s[26:27]
	v_mov_b64_e32 v[24:25], v[32:33]
	s_lshr_b64 s[26:27], s[26:27], 30
	s_delay_alu instid0(SALU_CYCLE_1)
	s_mul_u64 s[26:27], s[26:27], 0x7fffffff
	s_or_b32 s25, vcc_lo, s25
	s_sub_nc_u64 s[22:23], s[22:23], s[26:27]
	s_and_not1_b32 exec_lo, exec_lo, s25
	s_cbranch_execz .LBB27_967
.LBB27_955:                             ; =>This Inner Loop Header: Depth=1
	s_delay_alu instid0(VALU_DEP_1) | instskip(SKIP_1) | instid1(VALU_DEP_1)
	v_and_b32_e32 v13, 1, v24
	s_mov_b32 s12, exec_lo
	v_cmpx_eq_u32_e32 1, v13
	s_cbranch_execz .LBB27_954
; %bb.956:                              ;   in Loop: Header=BB27_955 Depth=1
	v_mul_u64_e32 v[26:27], s[22:23], v[26:27]
	s_delay_alu instid0(VALU_DEP_1) | instskip(NEXT) | instid1(VALU_DEP_1)
	v_mov_b32_e32 v22, v26
	v_mul_u64_e32 v[32:33], 5, v[22:23]
	s_delay_alu instid0(VALU_DEP_1) | instskip(NEXT) | instid1(VALU_DEP_1)
	v_mov_b32_e32 v22, v33
	v_mad_nc_u64_u32 v[32:33], v27, 5, v[22:23]
	s_delay_alu instid0(VALU_DEP_1) | instskip(NEXT) | instid1(VALU_DEP_1)
	v_dual_mov_b32 v22, v33 :: v_dual_mov_b32 v33, v23
	v_mad_nc_u64_u32 v[32:33], v26, 2, v[32:33]
	s_delay_alu instid0(VALU_DEP_1) | instskip(NEXT) | instid1(VALU_DEP_1)
	v_dual_mov_b32 v32, v33 :: v_dual_mov_b32 v33, v23
	v_add_nc_u64_e32 v[32:33], v[22:23], v[32:33]
	s_delay_alu instid0(VALU_DEP_1) | instskip(NEXT) | instid1(VALU_DEP_1)
	v_mad_nc_u64_u32 v[32:33], v27, 2, v[32:33]
	v_sub_nc_u64_e32 v[34:35], v[26:27], v[32:33]
	s_delay_alu instid0(VALU_DEP_1) | instskip(NEXT) | instid1(VALU_DEP_1)
	v_lshrrev_b64 v[34:35], 1, v[34:35]
	v_add_nc_u64_e32 v[32:33], v[34:35], v[32:33]
	s_delay_alu instid0(VALU_DEP_1) | instskip(NEXT) | instid1(VALU_DEP_1)
	v_lshrrev_b64 v[32:33], 30, v[32:33]
	v_mul_u64_e32 v[32:33], 0x7fffffff, v[32:33]
	s_delay_alu instid0(VALU_DEP_1)
	v_sub_nc_u64_e32 v[26:27], v[26:27], v[32:33]
	s_branch .LBB27_954
.LBB27_957:
	s_or_b32 exec_lo, exec_lo, s22
	v_add_min_u32_e64 v10, 0x80000001, v48, v48
	s_delay_alu instid0(VALU_DEP_1)
	v_add_min_u32_e64 v37, 0x80000001, v10, v10
.LBB27_958:
	s_or_b32 exec_lo, exec_lo, s21
	v_mov_b32_e32 v10, 0
	s_movk_i32 s13, 0x1388
	s_brev_b32 s12, 12
.LBB27_959:                             ; =>This Inner Loop Header: Depth=1
	v_mul_hi_u32 v36, 0xbc8f1391, v37
	s_delay_alu instid0(VALU_DEP_1) | instskip(NEXT) | instid1(VALU_DEP_1)
	v_dual_add_f32 v54, 1.0, v10 :: v_dual_lshrrev_b32 v36, 15, v36
	v_mul_u32_u24_e32 v38, 0xadc8, v36
	s_delay_alu instid0(VALU_DEP_1) | instskip(SKIP_1) | instid1(VALU_DEP_2)
	v_sub_nc_u32_e32 v37, v37, v38
	v_mul_u32_u24_e32 v36, 0xd47, v36
	v_mul_lo_u32 v37, 0xbc8f, v37
	s_delay_alu instid0(VALU_DEP_2) | instskip(SKIP_1) | instid1(VALU_DEP_3)
	v_xor_b32_e32 v38, 0x7fffffff, v36
	v_sub_nc_u32_e32 v39, 0, v36
	v_cmp_lt_u32_e32 vcc_lo, v37, v36
	s_delay_alu instid0(VALU_DEP_2) | instskip(NEXT) | instid1(VALU_DEP_1)
	v_cndmask_b32_e32 v36, v39, v38, vcc_lo
	v_add_nc_u32_e32 v36, v36, v37
	s_delay_alu instid0(VALU_DEP_1) | instskip(NEXT) | instid1(VALU_DEP_1)
	v_mul_hi_u32 v37, 0xbc8f1391, v36
	v_lshrrev_b32_e32 v37, 15, v37
	s_delay_alu instid0(VALU_DEP_1) | instskip(SKIP_1) | instid1(VALU_DEP_1)
	v_mul_u32_u24_e32 v38, 0xadc8, v37
	v_mul_u32_u24_e32 v37, 0xd47, v37
	v_dual_sub_nc_u32 v38, v36, v38 :: v_dual_sub_nc_u32 v48, 0, v37
	v_xor_b32_e32 v39, 0x7fffffff, v37
	v_add_nc_u32_e32 v36, -1, v36
	s_delay_alu instid0(VALU_DEP_3) | instskip(NEXT) | instid1(VALU_DEP_1)
	v_mul_lo_u32 v38, 0xbc8f, v38
	v_cmp_lt_u32_e32 vcc_lo, v38, v37
	s_delay_alu instid0(VALU_DEP_4) | instskip(NEXT) | instid1(VALU_DEP_1)
	v_cndmask_b32_e32 v37, v48, v39, vcc_lo
	v_add_nc_u32_e32 v37, v37, v38
	s_delay_alu instid0(VALU_DEP_1) | instskip(NEXT) | instid1(VALU_DEP_1)
	v_mul_hi_u32 v38, 0xbc8f1391, v37
	v_lshrrev_b32_e32 v38, 15, v38
	s_delay_alu instid0(VALU_DEP_1) | instskip(SKIP_1) | instid1(VALU_DEP_1)
	v_mul_u32_u24_e32 v39, 0xadc8, v38
	v_mul_u32_u24_e32 v38, 0xd47, v38
	v_dual_sub_nc_u32 v49, 0, v38 :: v_dual_sub_nc_u32 v39, v37, v39
	v_xor_b32_e32 v48, 0x7fffffff, v38
	v_add_nc_u32_e32 v37, -1, v37
	s_delay_alu instid0(VALU_DEP_3) | instskip(NEXT) | instid1(VALU_DEP_1)
	v_mul_lo_u32 v39, 0xbc8f, v39
	v_cmp_lt_u32_e32 vcc_lo, v39, v38
	s_delay_alu instid0(VALU_DEP_4) | instskip(NEXT) | instid1(VALU_DEP_1)
	v_cndmask_b32_e32 v38, v49, v48, vcc_lo
	v_add_nc_u32_e32 v48, v38, v39
	s_delay_alu instid0(VALU_DEP_1) | instskip(NEXT) | instid1(VALU_DEP_1)
	v_mul_hi_u32 v38, 0xbc8f1391, v48
	v_lshrrev_b32_e32 v38, 15, v38
	s_delay_alu instid0(VALU_DEP_1) | instskip(NEXT) | instid1(VALU_DEP_1)
	v_mul_u32_u24_e32 v39, 0xadc8, v38
	v_sub_nc_u32_e32 v39, v48, v39
	s_delay_alu instid0(VALU_DEP_1) | instskip(SKIP_2) | instid1(VALU_DEP_2)
	v_mul_lo_u32 v49, 0xbc8f, v39
	v_mul_u32_u24_e32 v39, 0xd47, v38
	v_cvt_f32_u32_e32 v38, v36
	v_xor_b32_e32 v36, 0x7fffffff, v39
	v_sub_nc_u32_e32 v55, 0, v39
	v_cmp_lt_u32_e32 vcc_lo, v49, v39
	v_cvt_f32_u32_e32 v39, v37
	s_delay_alu instid0(VALU_DEP_3) | instskip(NEXT) | instid1(VALU_DEP_2)
	v_cndmask_b32_e32 v36, v55, v36, vcc_lo
	v_pk_fma_f32 v[38:39], v[38:39], s[12:13], 0 op_sel_hi:[1,0,0]
	s_delay_alu instid0(VALU_DEP_2) | instskip(NEXT) | instid1(VALU_DEP_2)
	v_dual_add_nc_u32 v37, v36, v49 :: v_dual_add_nc_u32 v36, -1, v48
	v_pk_mul_f32 v[38:39], v[38:39], v[38:39]
	s_delay_alu instid0(VALU_DEP_2) | instskip(NEXT) | instid1(VALU_DEP_3)
	v_add_nc_u32_e32 v49, -1, v37
	v_cvt_f32_u32_e32 v48, v36
	s_delay_alu instid0(VALU_DEP_3) | instskip(NEXT) | instid1(VALU_DEP_3)
	v_add_f32_e32 v36, v38, v39
	v_cvt_f32_u32_e32 v49, v49
	s_delay_alu instid0(VALU_DEP_2) | instskip(NEXT) | instid1(VALU_DEP_2)
	v_cmp_gt_f32_e32 vcc_lo, 0xf800000, v36
	v_pk_fma_f32 v[38:39], v[48:49], s[12:13], 0 op_sel_hi:[1,0,0]
	v_mul_f32_e32 v48, 0x4f800000, v36
	s_add_co_i32 s13, s13, -2
	s_delay_alu instid0(SALU_CYCLE_1) | instskip(NEXT) | instid1(VALU_DEP_2)
	s_cmp_lg_u32 s13, 0
	v_pk_mul_f32 v[38:39], v[38:39], v[38:39]
	s_delay_alu instid0(VALU_DEP_1) | instskip(NEXT) | instid1(VALU_DEP_1)
	v_add_f32_e32 v38, v38, v39
	v_cmp_gt_f32_e64 s10, 0xf800000, v38
	v_cndmask_b32_e32 v36, v36, v48, vcc_lo
	v_mul_f32_e32 v48, 0x4f800000, v38
	s_delay_alu instid0(VALU_DEP_1) | instskip(NEXT) | instid1(VALU_DEP_3)
	v_cndmask_b32_e64 v38, v38, v48, s10
	v_sqrt_f32_e32 v39, v36
	s_delay_alu instid0(VALU_DEP_1) | instskip(NEXT) | instid1(TRANS32_DEP_2)
	v_sqrt_f32_e32 v64, v38
	v_dual_add_nc_u32 v49, -1, v39 :: v_dual_add_nc_u32 v48, 1, v39
	s_delay_alu instid0(VALU_DEP_1) | instskip(NEXT) | instid1(VALU_DEP_1)
	v_fma_f32 v55, -v49, v39, v36
	v_cmp_ge_f32_e64 s11, 0, v55
	s_delay_alu instid0(VALU_DEP_1) | instskip(NEXT) | instid1(VALU_DEP_1)
	v_dual_fma_f32 v65, -v48, v39, v36 :: v_dual_cndmask_b32 v39, v39, v49, s11
	v_cmp_lt_f32_e64 s11, 0, v65
	s_delay_alu instid0(TRANS32_DEP_1) | instskip(NEXT) | instid1(VALU_DEP_2)
	v_add_nc_u32_e32 v49, -1, v64
	v_cndmask_b32_e64 v39, v39, v48, s11
	s_delay_alu instid0(VALU_DEP_2) | instskip(NEXT) | instid1(VALU_DEP_1)
	v_dual_add_nc_u32 v48, 1, v64 :: v_dual_fma_f32 v55, -v49, v64, v38
	v_cmp_ge_f32_e64 s11, 0, v55
	s_delay_alu instid0(VALU_DEP_1) | instskip(NEXT) | instid1(VALU_DEP_4)
	v_cndmask_b32_e64 v49, v64, v49, s11
	v_mul_f32_e32 v65, 0x37800000, v39
	s_delay_alu instid0(VALU_DEP_1) | instskip(SKIP_1) | instid1(VALU_DEP_2)
	v_cndmask_b32_e32 v39, v39, v65, vcc_lo
	v_cmp_class_f32_e64 vcc_lo, v36, 0x260
	v_cndmask_b32_e32 v36, v39, v36, vcc_lo
	s_delay_alu instid0(VALU_DEP_1) | instskip(NEXT) | instid1(VALU_DEP_3)
	v_cmp_nge_f32_e32 vcc_lo, 1.0, v36
	v_dual_fma_f32 v66, -v48, v64, v38 :: v_dual_cndmask_b32 v10, v54, v10, vcc_lo
	s_delay_alu instid0(VALU_DEP_1) | instskip(SKIP_1) | instid1(VALU_DEP_2)
	v_cmp_lt_f32_e64 s11, 0, v66
	v_cmp_class_f32_e64 vcc_lo, v38, 0x260
	v_cndmask_b32_e64 v48, v49, v48, s11
	s_delay_alu instid0(VALU_DEP_1) | instskip(NEXT) | instid1(VALU_DEP_1)
	v_mul_f32_e32 v39, 0x37800000, v48
	v_dual_cndmask_b32 v36, v48, v39, s10 :: v_dual_add_f32 v39, 1.0, v10
	s_delay_alu instid0(VALU_DEP_1) | instskip(NEXT) | instid1(VALU_DEP_1)
	v_cndmask_b32_e32 v36, v36, v38, vcc_lo
	v_cmp_nge_f32_e32 vcc_lo, 1.0, v36
	s_delay_alu instid0(VALU_DEP_3)
	v_cndmask_b32_e32 v10, v39, v10, vcc_lo
	s_cbranch_scc1 .LBB27_959
; %bb.960:
	s_delay_alu instid0(VALU_DEP_1) | instskip(NEXT) | instid1(VALU_DEP_1)
	v_mul_f32_e32 v10, 4.0, v10
	v_div_scale_f32 v36, null, 0x459c4000, 0x459c4000, v10
	s_delay_alu instid0(VALU_DEP_1) | instskip(SKIP_1) | instid1(TRANS32_DEP_1)
	v_rcp_f32_e32 v37, v36
	v_nop
	v_fma_f32 v38, -v36, v37, 1.0
	s_delay_alu instid0(VALU_DEP_1) | instskip(SKIP_1) | instid1(VALU_DEP_1)
	v_fmac_f32_e32 v37, v38, v37
	v_div_scale_f32 v38, vcc_lo, v10, 0x459c4000, v10
	v_mul_f32_e32 v39, v38, v37
	s_delay_alu instid0(VALU_DEP_1) | instskip(NEXT) | instid1(VALU_DEP_1)
	v_fma_f32 v48, -v36, v39, v38
	v_fmac_f32_e32 v39, v48, v37
	s_delay_alu instid0(VALU_DEP_1) | instskip(NEXT) | instid1(VALU_DEP_1)
	v_fma_f32 v36, -v36, v39, v38
	v_div_fmas_f32 v36, v36, v37, v39
	s_delay_alu instid0(VALU_DEP_1)
	v_div_fixup_f32 v10, v36, 0x459c4000, v10
.LBB27_961:
	s_or_b32 exec_lo, exec_lo, s20
	v_add_nc_u32_e32 v36, 0xb00, v50
	s_delay_alu instid0(VALU_DEP_1)
	v_cmp_lt_u32_e64 s10, v36, v52
	s_and_saveexec_b32 s22, s10
	s_cbranch_execz .LBB27_981
; %bb.962:
	v_dual_add_nc_u32 v11, v53, v36 :: v_dual_mov_b32 v37, 1
	s_mov_b32 s13, 0
	s_mov_b32 s11, exec_lo
	s_delay_alu instid0(VALU_DEP_1) | instskip(NEXT) | instid1(VALU_DEP_1)
	v_mul_lo_u32 v36, 0x1388, v11
	v_cmpx_ne_u32_e32 0, v36
	s_cbranch_execz .LBB27_978
; %bb.963:
	v_mov_b32_e32 v37, 0
	v_mov_b64_e32 v[48:49], 1
	s_mov_b64 s[20:21], 0xbc8f
	s_mov_b64 s[14:15], 0xfffffffd
	s_mov_b64 s[16:17], 0xffffffff
	v_mov_b64_e32 v[38:39], v[36:37]
	s_mov_b64 s[18:19], 0x80000001
	s_mov_b32 s23, 0
	s_branch .LBB27_965
.LBB27_964:                             ;   in Loop: Header=BB27_965 Depth=1
	s_or_b32 exec_lo, exec_lo, s12
	s_mul_u64 s[20:21], s[20:21], s[20:21]
	s_mov_b32 s25, s13
	s_and_b64 s[26:27], s[20:21], s[14:15]
	s_mov_b32 s12, s21
	s_mul_u64 s[28:29], s[26:27], 3
	s_mul_u64 s[40:41], s[12:13], 3
	s_mov_b32 s24, s29
	s_mul_u64 s[26:27], s[26:27], s[18:19]
	s_add_nc_u64 s[24:25], s[40:41], s[24:25]
	v_lshrrev_b64 v[54:55], 1, v[38:39]
	s_and_b64 s[40:41], s[24:25], s[16:17]
	s_mov_b32 s29, s13
	s_add_nc_u64 s[26:27], s[26:27], s[40:41]
	s_mov_b32 s43, s13
	s_mov_b32 s28, s25
	;; [unrolled: 1-line block ×3, first 2 shown]
	s_mul_u64 s[26:27], s[12:13], s[18:19]
	s_add_nc_u64 s[24:25], s[28:29], s[42:43]
	v_cmp_gt_u64_e32 vcc_lo, 2, v[38:39]
	s_add_nc_u64 s[24:25], s[26:27], s[24:25]
	v_mov_b64_e32 v[38:39], v[54:55]
	s_lshr_b64 s[24:25], s[24:25], 30
	s_delay_alu instid0(SALU_CYCLE_1)
	s_mul_u64 s[24:25], s[24:25], 0x7fffffff
	s_or_b32 s23, vcc_lo, s23
	s_sub_nc_u64 s[20:21], s[20:21], s[24:25]
	s_and_not1_b32 exec_lo, exec_lo, s23
	s_cbranch_execz .LBB27_977
.LBB27_965:                             ; =>This Inner Loop Header: Depth=1
	s_delay_alu instid0(VALU_DEP_1) | instskip(SKIP_1) | instid1(VALU_DEP_1)
	v_and_b32_e32 v11, 1, v38
	s_mov_b32 s12, exec_lo
	v_cmpx_eq_u32_e32 1, v11
	s_cbranch_execz .LBB27_964
; %bb.966:                              ;   in Loop: Header=BB27_965 Depth=1
	v_mul_u64_e32 v[48:49], s[20:21], v[48:49]
	s_delay_alu instid0(VALU_DEP_1) | instskip(NEXT) | instid1(VALU_DEP_1)
	v_mov_b32_e32 v36, v48
	v_mul_u64_e32 v[54:55], 5, v[36:37]
	s_delay_alu instid0(VALU_DEP_1) | instskip(NEXT) | instid1(VALU_DEP_1)
	v_mov_b32_e32 v36, v55
	v_mad_nc_u64_u32 v[54:55], v49, 5, v[36:37]
	s_delay_alu instid0(VALU_DEP_1) | instskip(NEXT) | instid1(VALU_DEP_1)
	v_dual_mov_b32 v36, v55 :: v_dual_mov_b32 v55, v37
	v_mad_nc_u64_u32 v[54:55], v48, 2, v[54:55]
	s_delay_alu instid0(VALU_DEP_1) | instskip(NEXT) | instid1(VALU_DEP_1)
	v_dual_mov_b32 v54, v55 :: v_dual_mov_b32 v55, v37
	v_add_nc_u64_e32 v[54:55], v[36:37], v[54:55]
	s_delay_alu instid0(VALU_DEP_1) | instskip(NEXT) | instid1(VALU_DEP_1)
	v_mad_nc_u64_u32 v[54:55], v49, 2, v[54:55]
	v_sub_nc_u64_e32 v[64:65], v[48:49], v[54:55]
	s_delay_alu instid0(VALU_DEP_1) | instskip(NEXT) | instid1(VALU_DEP_1)
	v_lshrrev_b64 v[64:65], 1, v[64:65]
	v_add_nc_u64_e32 v[54:55], v[64:65], v[54:55]
	s_delay_alu instid0(VALU_DEP_1) | instskip(NEXT) | instid1(VALU_DEP_1)
	v_lshrrev_b64 v[54:55], 30, v[54:55]
	v_mul_u64_e32 v[54:55], 0x7fffffff, v[54:55]
	s_delay_alu instid0(VALU_DEP_1)
	v_sub_nc_u64_e32 v[48:49], v[48:49], v[54:55]
	s_branch .LBB27_964
.LBB27_967:
	s_or_b32 exec_lo, exec_lo, s25
	v_add_min_u32_e64 v13, 0x80000001, v26, v26
	s_delay_alu instid0(VALU_DEP_1)
	v_add_min_u32_e64 v23, 0x80000001, v13, v13
.LBB27_968:
	s_or_b32 exec_lo, exec_lo, s11
	v_mov_b32_e32 v13, 0
	s_movk_i32 s13, 0x1388
	s_brev_b32 s14, 12
.LBB27_969:                             ; =>This Inner Loop Header: Depth=1
	v_mul_hi_u32 v22, 0xbc8f1391, v23
	s_add_co_i32 s13, s13, -2
	s_delay_alu instid0(VALU_DEP_2) | instskip(SKIP_1) | instid1(VALU_DEP_2)
	v_add_f32_e32 v31, 1.0, v13
	s_cmp_lg_u32 s13, 0
	v_lshrrev_b32_e32 v22, 15, v22
	s_delay_alu instid0(VALU_DEP_1) | instskip(NEXT) | instid1(VALU_DEP_1)
	v_mul_u32_u24_e32 v24, 0xadc8, v22
	v_sub_nc_u32_e32 v23, v23, v24
	v_mul_u32_u24_e32 v22, 0xd47, v22
	s_delay_alu instid0(VALU_DEP_2) | instskip(NEXT) | instid1(VALU_DEP_2)
	v_mul_lo_u32 v23, 0xbc8f, v23
	v_xor_b32_e32 v24, 0x7fffffff, v22
	v_sub_nc_u32_e32 v25, 0, v22
	s_delay_alu instid0(VALU_DEP_3) | instskip(NEXT) | instid1(VALU_DEP_2)
	v_cmp_lt_u32_e32 vcc_lo, v23, v22
	v_cndmask_b32_e32 v22, v25, v24, vcc_lo
	s_delay_alu instid0(VALU_DEP_1) | instskip(NEXT) | instid1(VALU_DEP_1)
	v_add_nc_u32_e32 v22, v22, v23
	v_mul_hi_u32 v23, 0xbc8f1391, v22
	s_delay_alu instid0(VALU_DEP_1) | instskip(NEXT) | instid1(VALU_DEP_1)
	v_lshrrev_b32_e32 v23, 15, v23
	v_mul_u32_u24_e32 v24, 0xadc8, v23
	v_mul_u32_u24_e32 v23, 0xd47, v23
	s_delay_alu instid0(VALU_DEP_1) | instskip(SKIP_2) | instid1(VALU_DEP_3)
	v_dual_sub_nc_u32 v24, v22, v24 :: v_dual_sub_nc_u32 v26, 0, v23
	v_xor_b32_e32 v25, 0x7fffffff, v23
	v_add_nc_u32_e32 v22, -1, v22
	v_mul_lo_u32 v24, 0xbc8f, v24
	s_delay_alu instid0(VALU_DEP_1) | instskip(NEXT) | instid1(VALU_DEP_4)
	v_cmp_lt_u32_e32 vcc_lo, v24, v23
	v_cndmask_b32_e32 v23, v26, v25, vcc_lo
	s_delay_alu instid0(VALU_DEP_1) | instskip(NEXT) | instid1(VALU_DEP_1)
	v_add_nc_u32_e32 v23, v23, v24
	v_mul_hi_u32 v24, 0xbc8f1391, v23
	s_delay_alu instid0(VALU_DEP_1) | instskip(NEXT) | instid1(VALU_DEP_1)
	v_lshrrev_b32_e32 v24, 15, v24
	v_mul_u32_u24_e32 v25, 0xadc8, v24
	v_mul_u32_u24_e32 v24, 0xd47, v24
	s_delay_alu instid0(VALU_DEP_1) | instskip(SKIP_2) | instid1(VALU_DEP_3)
	v_dual_sub_nc_u32 v27, 0, v24 :: v_dual_sub_nc_u32 v25, v23, v25
	v_xor_b32_e32 v26, 0x7fffffff, v24
	v_add_nc_u32_e32 v23, -1, v23
	v_mul_lo_u32 v25, 0xbc8f, v25
	s_delay_alu instid0(VALU_DEP_1) | instskip(NEXT) | instid1(VALU_DEP_4)
	v_cmp_lt_u32_e32 vcc_lo, v25, v24
	v_cndmask_b32_e32 v24, v27, v26, vcc_lo
	s_delay_alu instid0(VALU_DEP_1) | instskip(NEXT) | instid1(VALU_DEP_1)
	v_add_nc_u32_e32 v26, v24, v25
	v_mul_hi_u32 v24, 0xbc8f1391, v26
	s_delay_alu instid0(VALU_DEP_1) | instskip(NEXT) | instid1(VALU_DEP_1)
	v_lshrrev_b32_e32 v24, 15, v24
	v_mul_u32_u24_e32 v25, 0xadc8, v24
	s_delay_alu instid0(VALU_DEP_1) | instskip(NEXT) | instid1(VALU_DEP_1)
	v_sub_nc_u32_e32 v25, v26, v25
	v_mul_lo_u32 v27, 0xbc8f, v25
	v_mul_u32_u24_e32 v25, 0xd47, v24
	v_cvt_f32_u32_e32 v24, v22
	s_delay_alu instid0(VALU_DEP_2) | instskip(SKIP_3) | instid1(VALU_DEP_3)
	v_xor_b32_e32 v22, 0x7fffffff, v25
	v_sub_nc_u32_e32 v32, 0, v25
	v_cmp_lt_u32_e32 vcc_lo, v27, v25
	v_cvt_f32_u32_e32 v25, v23
	v_cndmask_b32_e32 v22, v32, v22, vcc_lo
	s_delay_alu instid0(VALU_DEP_2) | instskip(NEXT) | instid1(VALU_DEP_2)
	v_pk_fma_f32 v[24:25], v[24:25], s[14:15], 0 op_sel_hi:[1,0,0]
	v_dual_add_nc_u32 v23, v22, v27 :: v_dual_add_nc_u32 v22, -1, v26
	s_delay_alu instid0(VALU_DEP_2) | instskip(NEXT) | instid1(VALU_DEP_2)
	v_pk_mul_f32 v[24:25], v[24:25], v[24:25]
	v_add_nc_u32_e32 v27, -1, v23
	s_delay_alu instid0(VALU_DEP_3) | instskip(NEXT) | instid1(VALU_DEP_3)
	v_cvt_f32_u32_e32 v26, v22
	v_add_f32_e32 v22, v24, v25
	s_delay_alu instid0(VALU_DEP_3) | instskip(NEXT) | instid1(VALU_DEP_2)
	v_cvt_f32_u32_e32 v27, v27
	v_cmp_gt_f32_e32 vcc_lo, 0xf800000, v22
	s_delay_alu instid0(VALU_DEP_2) | instskip(SKIP_1) | instid1(VALU_DEP_2)
	v_pk_fma_f32 v[24:25], v[26:27], s[14:15], 0 op_sel_hi:[1,0,0]
	v_mul_f32_e32 v26, 0x4f800000, v22
	v_pk_mul_f32 v[24:25], v[24:25], v[24:25]
	s_delay_alu instid0(VALU_DEP_1) | instskip(NEXT) | instid1(VALU_DEP_1)
	v_add_f32_e32 v24, v24, v25
	v_cmp_gt_f32_e64 s11, 0xf800000, v24
	s_delay_alu instid0(VALU_DEP_4) | instskip(SKIP_1) | instid1(VALU_DEP_1)
	v_cndmask_b32_e32 v22, v22, v26, vcc_lo
	v_mul_f32_e32 v26, 0x4f800000, v24
	v_cndmask_b32_e64 v24, v24, v26, s11
	s_delay_alu instid0(VALU_DEP_3) | instskip(NEXT) | instid1(VALU_DEP_1)
	v_sqrt_f32_e32 v25, v22
	v_sqrt_f32_e32 v33, v24
	s_delay_alu instid0(TRANS32_DEP_2) | instskip(NEXT) | instid1(VALU_DEP_1)
	v_dual_add_nc_u32 v27, -1, v25 :: v_dual_add_nc_u32 v26, 1, v25
	v_fma_f32 v32, -v27, v25, v22
	s_delay_alu instid0(VALU_DEP_1) | instskip(NEXT) | instid1(VALU_DEP_1)
	v_cmp_ge_f32_e64 s12, 0, v32
	v_dual_fma_f32 v34, -v26, v25, v22 :: v_dual_cndmask_b32 v25, v25, v27, s12
	s_delay_alu instid0(VALU_DEP_1)
	v_cmp_lt_f32_e64 s12, 0, v34
	s_delay_alu instid0(TRANS32_DEP_1) | instid1(VALU_DEP_1)
	v_dual_add_nc_u32 v27, -1, v33 :: v_dual_cndmask_b32 v25, v25, v26, s12
	s_delay_alu instid0(VALU_DEP_1) | instskip(NEXT) | instid1(VALU_DEP_1)
	v_dual_add_nc_u32 v26, 1, v33 :: v_dual_fma_f32 v32, -v27, v33, v24
	v_fma_f32 v35, -v26, v33, v24
	s_delay_alu instid0(VALU_DEP_2) | instskip(NEXT) | instid1(VALU_DEP_1)
	v_cmp_ge_f32_e64 s12, 0, v32
	v_cndmask_b32_e64 v27, v33, v27, s12
	s_delay_alu instid0(VALU_DEP_3) | instskip(NEXT) | instid1(VALU_DEP_1)
	v_cmp_lt_f32_e64 s12, 0, v35
	v_cndmask_b32_e64 v26, v27, v26, s12
	v_mul_f32_e32 v34, 0x37800000, v25
	s_delay_alu instid0(VALU_DEP_1) | instskip(SKIP_1) | instid1(VALU_DEP_2)
	v_cndmask_b32_e32 v25, v25, v34, vcc_lo
	v_cmp_class_f32_e64 vcc_lo, v22, 0x260
	v_cndmask_b32_e32 v22, v25, v22, vcc_lo
	v_mul_f32_e32 v25, 0x37800000, v26
	s_delay_alu instid0(VALU_DEP_2) | instskip(NEXT) | instid1(VALU_DEP_2)
	v_cmp_nge_f32_e32 vcc_lo, 1.0, v22
	v_cndmask_b32_e64 v22, v26, v25, s11
	v_cndmask_b32_e32 v13, v31, v13, vcc_lo
	v_cmp_class_f32_e64 vcc_lo, v24, 0x260
	s_delay_alu instid0(VALU_DEP_2) | instskip(NEXT) | instid1(VALU_DEP_1)
	v_dual_add_f32 v25, 1.0, v13 :: v_dual_cndmask_b32 v22, v22, v24
	v_cmp_nge_f32_e32 vcc_lo, 1.0, v22
	s_delay_alu instid0(VALU_DEP_2)
	v_cndmask_b32_e32 v13, v25, v13, vcc_lo
	s_cbranch_scc1 .LBB27_969
; %bb.970:
	s_delay_alu instid0(VALU_DEP_1) | instskip(NEXT) | instid1(VALU_DEP_1)
	v_mul_f32_e32 v13, 4.0, v13
	v_div_scale_f32 v22, null, 0x459c4000, 0x459c4000, v13
	s_delay_alu instid0(VALU_DEP_1) | instskip(SKIP_1) | instid1(TRANS32_DEP_1)
	v_rcp_f32_e32 v23, v22
	v_nop
	v_fma_f32 v24, -v22, v23, 1.0
	s_delay_alu instid0(VALU_DEP_1) | instskip(SKIP_1) | instid1(VALU_DEP_1)
	v_fmac_f32_e32 v23, v24, v23
	v_div_scale_f32 v24, vcc_lo, v13, 0x459c4000, v13
	v_mul_f32_e32 v25, v24, v23
	s_delay_alu instid0(VALU_DEP_1) | instskip(NEXT) | instid1(VALU_DEP_1)
	v_fma_f32 v26, -v22, v25, v24
	v_fmac_f32_e32 v25, v26, v23
	s_delay_alu instid0(VALU_DEP_1) | instskip(NEXT) | instid1(VALU_DEP_1)
	v_fma_f32 v22, -v22, v25, v24
	v_div_fmas_f32 v22, v22, v23, v25
	s_delay_alu instid0(VALU_DEP_1)
	v_div_fixup_f32 v13, v22, 0x459c4000, v13
.LBB27_971:
	s_or_b32 exec_lo, exec_lo, s24
	v_or_b32_e32 v22, 0xc00, v50
	s_delay_alu instid0(VALU_DEP_1)
	v_cmp_lt_u32_e64 s11, v22, v29
	s_and_saveexec_b32 s24, s11
	s_cbranch_execz .LBB27_991
; %bb.972:
	v_dual_mov_b32 v23, 1 :: v_dual_add_nc_u32 v14, v30, v22
	s_mov_b32 s13, 0
	s_mov_b32 s25, exec_lo
	s_delay_alu instid0(VALU_DEP_1) | instskip(NEXT) | instid1(VALU_DEP_1)
	v_mul_lo_u32 v22, 0x1388, v14
	v_cmpx_ne_u32_e32 0, v22
	s_cbranch_execz .LBB27_988
; %bb.973:
	v_mov_b32_e32 v23, 0
	v_mov_b64_e32 v[26:27], 1
	s_mov_b64 s[22:23], 0xbc8f
	s_mov_b64 s[14:15], 0xfffffffd
	;; [unrolled: 1-line block ×3, first 2 shown]
	v_mov_b64_e32 v[24:25], v[22:23]
	s_mov_b64 s[20:21], 0x80000001
	s_mov_b32 s26, 0
	s_branch .LBB27_975
.LBB27_974:                             ;   in Loop: Header=BB27_975 Depth=1
	s_or_b32 exec_lo, exec_lo, s12
	s_mul_u64 s[22:23], s[22:23], s[22:23]
	s_mov_b32 s43, s13
	s_and_b64 s[44:45], s[22:23], s[14:15]
	s_mov_b32 s12, s23
	s_mul_u64 s[46:47], s[44:45], 3
	s_mul_u64 s[56:57], s[12:13], 3
	s_mov_b32 s42, s47
	s_mul_u64 s[44:45], s[44:45], s[20:21]
	s_add_nc_u64 s[42:43], s[56:57], s[42:43]
	v_lshrrev_b64 v[32:33], 1, v[24:25]
	s_and_b64 s[56:57], s[42:43], s[16:17]
	s_mov_b32 s47, s13
	s_add_nc_u64 s[44:45], s[44:45], s[56:57]
	s_mov_b32 s59, s13
	s_mov_b32 s46, s43
	;; [unrolled: 1-line block ×3, first 2 shown]
	s_mul_u64 s[44:45], s[12:13], s[20:21]
	s_add_nc_u64 s[42:43], s[46:47], s[58:59]
	v_cmp_gt_u64_e32 vcc_lo, 2, v[24:25]
	s_add_nc_u64 s[42:43], s[44:45], s[42:43]
	v_mov_b64_e32 v[24:25], v[32:33]
	s_lshr_b64 s[42:43], s[42:43], 30
	s_delay_alu instid0(SALU_CYCLE_1)
	s_mul_u64 s[42:43], s[42:43], 0x7fffffff
	s_or_b32 s26, vcc_lo, s26
	s_sub_nc_u64 s[22:23], s[22:23], s[42:43]
	s_and_not1_b32 exec_lo, exec_lo, s26
	s_cbranch_execz .LBB27_987
.LBB27_975:                             ; =>This Inner Loop Header: Depth=1
	s_delay_alu instid0(VALU_DEP_1) | instskip(SKIP_1) | instid1(VALU_DEP_1)
	v_and_b32_e32 v14, 1, v24
	s_mov_b32 s12, exec_lo
	v_cmpx_eq_u32_e32 1, v14
	s_cbranch_execz .LBB27_974
; %bb.976:                              ;   in Loop: Header=BB27_975 Depth=1
	v_mul_u64_e32 v[26:27], s[22:23], v[26:27]
	s_delay_alu instid0(VALU_DEP_1) | instskip(NEXT) | instid1(VALU_DEP_1)
	v_mov_b32_e32 v22, v26
	v_mul_u64_e32 v[32:33], 5, v[22:23]
	s_delay_alu instid0(VALU_DEP_1) | instskip(NEXT) | instid1(VALU_DEP_1)
	v_mov_b32_e32 v22, v33
	v_mad_nc_u64_u32 v[32:33], v27, 5, v[22:23]
	s_delay_alu instid0(VALU_DEP_1) | instskip(NEXT) | instid1(VALU_DEP_1)
	v_dual_mov_b32 v22, v33 :: v_dual_mov_b32 v33, v23
	v_mad_nc_u64_u32 v[32:33], v26, 2, v[32:33]
	s_delay_alu instid0(VALU_DEP_1) | instskip(NEXT) | instid1(VALU_DEP_1)
	v_dual_mov_b32 v32, v33 :: v_dual_mov_b32 v33, v23
	v_add_nc_u64_e32 v[32:33], v[22:23], v[32:33]
	s_delay_alu instid0(VALU_DEP_1) | instskip(NEXT) | instid1(VALU_DEP_1)
	v_mad_nc_u64_u32 v[32:33], v27, 2, v[32:33]
	v_sub_nc_u64_e32 v[34:35], v[26:27], v[32:33]
	s_delay_alu instid0(VALU_DEP_1) | instskip(NEXT) | instid1(VALU_DEP_1)
	v_lshrrev_b64 v[34:35], 1, v[34:35]
	v_add_nc_u64_e32 v[32:33], v[34:35], v[32:33]
	s_delay_alu instid0(VALU_DEP_1) | instskip(NEXT) | instid1(VALU_DEP_1)
	v_lshrrev_b64 v[32:33], 30, v[32:33]
	v_mul_u64_e32 v[32:33], 0x7fffffff, v[32:33]
	s_delay_alu instid0(VALU_DEP_1)
	v_sub_nc_u64_e32 v[26:27], v[26:27], v[32:33]
	s_branch .LBB27_974
.LBB27_977:
	s_or_b32 exec_lo, exec_lo, s23
	v_add_min_u32_e64 v11, 0x80000001, v48, v48
	s_delay_alu instid0(VALU_DEP_1)
	v_add_min_u32_e64 v37, 0x80000001, v11, v11
.LBB27_978:
	s_or_b32 exec_lo, exec_lo, s11
	v_mov_b32_e32 v11, 0
	s_movk_i32 s13, 0x1388
	s_brev_b32 s14, 12
.LBB27_979:                             ; =>This Inner Loop Header: Depth=1
	v_mul_hi_u32 v36, 0xbc8f1391, v37
	s_add_co_i32 s13, s13, -2
	s_delay_alu instid0(VALU_DEP_2) | instskip(SKIP_1) | instid1(VALU_DEP_2)
	v_add_f32_e32 v54, 1.0, v11
	s_cmp_lg_u32 s13, 0
	v_lshrrev_b32_e32 v36, 15, v36
	s_delay_alu instid0(VALU_DEP_1) | instskip(NEXT) | instid1(VALU_DEP_1)
	v_mul_u32_u24_e32 v38, 0xadc8, v36
	v_sub_nc_u32_e32 v37, v37, v38
	v_mul_u32_u24_e32 v36, 0xd47, v36
	s_delay_alu instid0(VALU_DEP_2) | instskip(NEXT) | instid1(VALU_DEP_2)
	v_mul_lo_u32 v37, 0xbc8f, v37
	v_xor_b32_e32 v38, 0x7fffffff, v36
	v_sub_nc_u32_e32 v39, 0, v36
	s_delay_alu instid0(VALU_DEP_3) | instskip(NEXT) | instid1(VALU_DEP_2)
	v_cmp_lt_u32_e32 vcc_lo, v37, v36
	v_cndmask_b32_e32 v36, v39, v38, vcc_lo
	s_delay_alu instid0(VALU_DEP_1) | instskip(NEXT) | instid1(VALU_DEP_1)
	v_add_nc_u32_e32 v36, v36, v37
	v_mul_hi_u32 v37, 0xbc8f1391, v36
	s_delay_alu instid0(VALU_DEP_1) | instskip(NEXT) | instid1(VALU_DEP_1)
	v_lshrrev_b32_e32 v37, 15, v37
	v_mul_u32_u24_e32 v38, 0xadc8, v37
	v_mul_u32_u24_e32 v37, 0xd47, v37
	s_delay_alu instid0(VALU_DEP_1) | instskip(SKIP_2) | instid1(VALU_DEP_3)
	v_dual_sub_nc_u32 v38, v36, v38 :: v_dual_sub_nc_u32 v48, 0, v37
	v_xor_b32_e32 v39, 0x7fffffff, v37
	v_add_nc_u32_e32 v36, -1, v36
	v_mul_lo_u32 v38, 0xbc8f, v38
	s_delay_alu instid0(VALU_DEP_1) | instskip(NEXT) | instid1(VALU_DEP_4)
	v_cmp_lt_u32_e32 vcc_lo, v38, v37
	v_cndmask_b32_e32 v37, v48, v39, vcc_lo
	s_delay_alu instid0(VALU_DEP_1) | instskip(NEXT) | instid1(VALU_DEP_1)
	v_add_nc_u32_e32 v37, v37, v38
	v_mul_hi_u32 v38, 0xbc8f1391, v37
	s_delay_alu instid0(VALU_DEP_1) | instskip(NEXT) | instid1(VALU_DEP_1)
	v_lshrrev_b32_e32 v38, 15, v38
	v_mul_u32_u24_e32 v39, 0xadc8, v38
	v_mul_u32_u24_e32 v38, 0xd47, v38
	s_delay_alu instid0(VALU_DEP_1) | instskip(SKIP_2) | instid1(VALU_DEP_3)
	v_dual_sub_nc_u32 v49, 0, v38 :: v_dual_sub_nc_u32 v39, v37, v39
	v_xor_b32_e32 v48, 0x7fffffff, v38
	v_add_nc_u32_e32 v37, -1, v37
	v_mul_lo_u32 v39, 0xbc8f, v39
	s_delay_alu instid0(VALU_DEP_1) | instskip(NEXT) | instid1(VALU_DEP_4)
	v_cmp_lt_u32_e32 vcc_lo, v39, v38
	v_cndmask_b32_e32 v38, v49, v48, vcc_lo
	s_delay_alu instid0(VALU_DEP_1) | instskip(NEXT) | instid1(VALU_DEP_1)
	v_add_nc_u32_e32 v48, v38, v39
	v_mul_hi_u32 v38, 0xbc8f1391, v48
	s_delay_alu instid0(VALU_DEP_1) | instskip(NEXT) | instid1(VALU_DEP_1)
	v_lshrrev_b32_e32 v38, 15, v38
	v_mul_u32_u24_e32 v39, 0xadc8, v38
	s_delay_alu instid0(VALU_DEP_1) | instskip(NEXT) | instid1(VALU_DEP_1)
	v_sub_nc_u32_e32 v39, v48, v39
	v_mul_lo_u32 v49, 0xbc8f, v39
	v_mul_u32_u24_e32 v39, 0xd47, v38
	v_cvt_f32_u32_e32 v38, v36
	s_delay_alu instid0(VALU_DEP_2) | instskip(SKIP_3) | instid1(VALU_DEP_3)
	v_xor_b32_e32 v36, 0x7fffffff, v39
	v_sub_nc_u32_e32 v55, 0, v39
	v_cmp_lt_u32_e32 vcc_lo, v49, v39
	v_cvt_f32_u32_e32 v39, v37
	v_cndmask_b32_e32 v36, v55, v36, vcc_lo
	s_delay_alu instid0(VALU_DEP_2) | instskip(NEXT) | instid1(VALU_DEP_2)
	v_pk_fma_f32 v[38:39], v[38:39], s[14:15], 0 op_sel_hi:[1,0,0]
	v_dual_add_nc_u32 v37, v36, v49 :: v_dual_add_nc_u32 v36, -1, v48
	s_delay_alu instid0(VALU_DEP_2) | instskip(NEXT) | instid1(VALU_DEP_2)
	v_pk_mul_f32 v[38:39], v[38:39], v[38:39]
	v_add_nc_u32_e32 v49, -1, v37
	s_delay_alu instid0(VALU_DEP_3) | instskip(NEXT) | instid1(VALU_DEP_3)
	v_cvt_f32_u32_e32 v48, v36
	v_add_f32_e32 v36, v38, v39
	s_delay_alu instid0(VALU_DEP_3) | instskip(NEXT) | instid1(VALU_DEP_2)
	v_cvt_f32_u32_e32 v49, v49
	v_cmp_gt_f32_e32 vcc_lo, 0xf800000, v36
	s_delay_alu instid0(VALU_DEP_2) | instskip(SKIP_1) | instid1(VALU_DEP_2)
	v_pk_fma_f32 v[38:39], v[48:49], s[14:15], 0 op_sel_hi:[1,0,0]
	v_mul_f32_e32 v48, 0x4f800000, v36
	v_pk_mul_f32 v[38:39], v[38:39], v[38:39]
	s_delay_alu instid0(VALU_DEP_1) | instskip(NEXT) | instid1(VALU_DEP_1)
	v_add_f32_e32 v38, v38, v39
	v_cmp_gt_f32_e64 s11, 0xf800000, v38
	s_delay_alu instid0(VALU_DEP_4) | instskip(SKIP_1) | instid1(VALU_DEP_1)
	v_cndmask_b32_e32 v36, v36, v48, vcc_lo
	v_mul_f32_e32 v48, 0x4f800000, v38
	v_cndmask_b32_e64 v38, v38, v48, s11
	s_delay_alu instid0(VALU_DEP_3) | instskip(NEXT) | instid1(VALU_DEP_1)
	v_sqrt_f32_e32 v39, v36
	v_sqrt_f32_e32 v64, v38
	s_delay_alu instid0(TRANS32_DEP_2) | instskip(NEXT) | instid1(VALU_DEP_1)
	v_dual_add_nc_u32 v49, -1, v39 :: v_dual_add_nc_u32 v48, 1, v39
	v_fma_f32 v55, -v49, v39, v36
	s_delay_alu instid0(VALU_DEP_1) | instskip(NEXT) | instid1(VALU_DEP_1)
	v_cmp_ge_f32_e64 s12, 0, v55
	v_dual_fma_f32 v65, -v48, v39, v36 :: v_dual_cndmask_b32 v39, v39, v49, s12
	s_delay_alu instid0(VALU_DEP_1) | instskip(NEXT) | instid1(TRANS32_DEP_1)
	v_cmp_lt_f32_e64 s12, 0, v65
	v_add_nc_u32_e32 v49, -1, v64
	s_delay_alu instid0(VALU_DEP_2) | instskip(NEXT) | instid1(VALU_DEP_2)
	v_cndmask_b32_e64 v39, v39, v48, s12
	v_dual_add_nc_u32 v48, 1, v64 :: v_dual_fma_f32 v55, -v49, v64, v38
	s_delay_alu instid0(VALU_DEP_1) | instskip(NEXT) | instid1(VALU_DEP_1)
	v_cmp_ge_f32_e64 s12, 0, v55
	v_cndmask_b32_e64 v49, v64, v49, s12
	s_delay_alu instid0(VALU_DEP_4) | instskip(NEXT) | instid1(VALU_DEP_1)
	v_mul_f32_e32 v65, 0x37800000, v39
	v_cndmask_b32_e32 v39, v39, v65, vcc_lo
	v_cmp_class_f32_e64 vcc_lo, v36, 0x260
	s_delay_alu instid0(VALU_DEP_2) | instskip(NEXT) | instid1(VALU_DEP_1)
	v_cndmask_b32_e32 v36, v39, v36, vcc_lo
	v_cmp_nge_f32_e32 vcc_lo, 1.0, v36
	s_delay_alu instid0(VALU_DEP_3) | instskip(NEXT) | instid1(VALU_DEP_1)
	v_dual_fma_f32 v66, -v48, v64, v38 :: v_dual_cndmask_b32 v11, v54, v11, vcc_lo
	v_cmp_lt_f32_e64 s12, 0, v66
	v_cmp_class_f32_e64 vcc_lo, v38, 0x260
	s_delay_alu instid0(VALU_DEP_2) | instskip(NEXT) | instid1(VALU_DEP_1)
	v_cndmask_b32_e64 v48, v49, v48, s12
	v_mul_f32_e32 v39, 0x37800000, v48
	s_delay_alu instid0(VALU_DEP_1) | instskip(NEXT) | instid1(VALU_DEP_1)
	v_cndmask_b32_e64 v36, v48, v39, s11
	v_dual_add_f32 v39, 1.0, v11 :: v_dual_cndmask_b32 v36, v36, v38
	s_delay_alu instid0(VALU_DEP_1) | instskip(NEXT) | instid1(VALU_DEP_2)
	v_cmp_nge_f32_e32 vcc_lo, 1.0, v36
	v_cndmask_b32_e32 v11, v39, v11, vcc_lo
	s_cbranch_scc1 .LBB27_979
; %bb.980:
	s_delay_alu instid0(VALU_DEP_1) | instskip(NEXT) | instid1(VALU_DEP_1)
	v_mul_f32_e32 v11, 4.0, v11
	v_div_scale_f32 v36, null, 0x459c4000, 0x459c4000, v11
	s_delay_alu instid0(VALU_DEP_1) | instskip(SKIP_1) | instid1(TRANS32_DEP_1)
	v_rcp_f32_e32 v37, v36
	v_nop
	v_fma_f32 v38, -v36, v37, 1.0
	s_delay_alu instid0(VALU_DEP_1) | instskip(SKIP_1) | instid1(VALU_DEP_1)
	v_fmac_f32_e32 v37, v38, v37
	v_div_scale_f32 v38, vcc_lo, v11, 0x459c4000, v11
	v_mul_f32_e32 v39, v38, v37
	s_delay_alu instid0(VALU_DEP_1) | instskip(NEXT) | instid1(VALU_DEP_1)
	v_fma_f32 v48, -v36, v39, v38
	v_fmac_f32_e32 v39, v48, v37
	s_delay_alu instid0(VALU_DEP_1) | instskip(NEXT) | instid1(VALU_DEP_1)
	v_fma_f32 v36, -v36, v39, v38
	v_div_fmas_f32 v36, v36, v37, v39
	s_delay_alu instid0(VALU_DEP_1)
	v_div_fixup_f32 v11, v36, 0x459c4000, v11
.LBB27_981:
	s_or_b32 exec_lo, exec_lo, s22
	v_or_b32_e32 v36, 0xc00, v50
	s_delay_alu instid0(VALU_DEP_1)
	v_cmp_lt_u32_e64 s11, v36, v52
	s_and_saveexec_b32 s22, s11
	s_cbranch_execz .LBB27_1001
; %bb.982:
	v_dual_mov_b32 v37, 1 :: v_dual_add_nc_u32 v12, v53, v36
	s_mov_b32 s13, 0
	s_mov_b32 s23, exec_lo
	s_delay_alu instid0(VALU_DEP_1) | instskip(NEXT) | instid1(VALU_DEP_1)
	v_mul_lo_u32 v36, 0x1388, v12
	v_cmpx_ne_u32_e32 0, v36
	s_cbranch_execz .LBB27_998
; %bb.983:
	v_mov_b32_e32 v37, 0
	v_mov_b64_e32 v[48:49], 1
	s_mov_b64 s[20:21], 0xbc8f
	s_mov_b64 s[14:15], 0xfffffffd
	;; [unrolled: 1-line block ×3, first 2 shown]
	v_mov_b64_e32 v[38:39], v[36:37]
	s_mov_b64 s[18:19], 0x80000001
	s_mov_b32 s24, 0
	s_branch .LBB27_985
.LBB27_984:                             ;   in Loop: Header=BB27_985 Depth=1
	s_or_b32 exec_lo, exec_lo, s12
	s_mul_u64 s[20:21], s[20:21], s[20:21]
	s_mov_b32 s27, s13
	s_and_b64 s[28:29], s[20:21], s[14:15]
	s_mov_b32 s12, s21
	s_mul_u64 s[40:41], s[28:29], 3
	s_mul_u64 s[42:43], s[12:13], 3
	s_mov_b32 s26, s41
	s_mul_u64 s[28:29], s[28:29], s[18:19]
	s_add_nc_u64 s[26:27], s[42:43], s[26:27]
	v_lshrrev_b64 v[54:55], 1, v[38:39]
	s_and_b64 s[42:43], s[26:27], s[16:17]
	s_mov_b32 s41, s13
	s_add_nc_u64 s[28:29], s[28:29], s[42:43]
	s_mov_b32 s47, s13
	s_mov_b32 s40, s27
	;; [unrolled: 1-line block ×3, first 2 shown]
	s_mul_u64 s[28:29], s[12:13], s[18:19]
	s_add_nc_u64 s[26:27], s[40:41], s[46:47]
	v_cmp_gt_u64_e32 vcc_lo, 2, v[38:39]
	s_add_nc_u64 s[26:27], s[28:29], s[26:27]
	v_mov_b64_e32 v[38:39], v[54:55]
	s_lshr_b64 s[26:27], s[26:27], 30
	s_delay_alu instid0(SALU_CYCLE_1)
	s_mul_u64 s[26:27], s[26:27], 0x7fffffff
	s_or_b32 s24, vcc_lo, s24
	s_sub_nc_u64 s[20:21], s[20:21], s[26:27]
	s_and_not1_b32 exec_lo, exec_lo, s24
	s_cbranch_execz .LBB27_997
.LBB27_985:                             ; =>This Inner Loop Header: Depth=1
	s_delay_alu instid0(VALU_DEP_1) | instskip(SKIP_1) | instid1(VALU_DEP_1)
	v_and_b32_e32 v12, 1, v38
	s_mov_b32 s12, exec_lo
	v_cmpx_eq_u32_e32 1, v12
	s_cbranch_execz .LBB27_984
; %bb.986:                              ;   in Loop: Header=BB27_985 Depth=1
	v_mul_u64_e32 v[48:49], s[20:21], v[48:49]
	s_delay_alu instid0(VALU_DEP_1) | instskip(NEXT) | instid1(VALU_DEP_1)
	v_mov_b32_e32 v36, v48
	v_mul_u64_e32 v[54:55], 5, v[36:37]
	s_delay_alu instid0(VALU_DEP_1) | instskip(NEXT) | instid1(VALU_DEP_1)
	v_mov_b32_e32 v36, v55
	v_mad_nc_u64_u32 v[54:55], v49, 5, v[36:37]
	s_delay_alu instid0(VALU_DEP_1) | instskip(NEXT) | instid1(VALU_DEP_1)
	v_dual_mov_b32 v36, v55 :: v_dual_mov_b32 v55, v37
	v_mad_nc_u64_u32 v[54:55], v48, 2, v[54:55]
	s_delay_alu instid0(VALU_DEP_1) | instskip(NEXT) | instid1(VALU_DEP_1)
	v_dual_mov_b32 v54, v55 :: v_dual_mov_b32 v55, v37
	v_add_nc_u64_e32 v[54:55], v[36:37], v[54:55]
	s_delay_alu instid0(VALU_DEP_1) | instskip(NEXT) | instid1(VALU_DEP_1)
	v_mad_nc_u64_u32 v[54:55], v49, 2, v[54:55]
	v_sub_nc_u64_e32 v[64:65], v[48:49], v[54:55]
	s_delay_alu instid0(VALU_DEP_1) | instskip(NEXT) | instid1(VALU_DEP_1)
	v_lshrrev_b64 v[64:65], 1, v[64:65]
	v_add_nc_u64_e32 v[54:55], v[64:65], v[54:55]
	s_delay_alu instid0(VALU_DEP_1) | instskip(NEXT) | instid1(VALU_DEP_1)
	v_lshrrev_b64 v[54:55], 30, v[54:55]
	v_mul_u64_e32 v[54:55], 0x7fffffff, v[54:55]
	s_delay_alu instid0(VALU_DEP_1)
	v_sub_nc_u64_e32 v[48:49], v[48:49], v[54:55]
	s_branch .LBB27_984
.LBB27_987:
	s_or_b32 exec_lo, exec_lo, s26
	v_add_min_u32_e64 v14, 0x80000001, v26, v26
	s_delay_alu instid0(VALU_DEP_1)
	v_add_min_u32_e64 v23, 0x80000001, v14, v14
.LBB27_988:
	s_or_b32 exec_lo, exec_lo, s25
	v_mov_b32_e32 v14, 0
	s_movk_i32 s15, 0x1388
	s_brev_b32 s14, 12
.LBB27_989:                             ; =>This Inner Loop Header: Depth=1
	v_mul_hi_u32 v22, 0xbc8f1391, v23
	s_delay_alu instid0(VALU_DEP_2) | instskip(NEXT) | instid1(VALU_DEP_2)
	v_add_f32_e32 v31, 1.0, v14
	v_lshrrev_b32_e32 v22, 15, v22
	s_delay_alu instid0(VALU_DEP_1) | instskip(NEXT) | instid1(VALU_DEP_1)
	v_mul_u32_u24_e32 v24, 0xadc8, v22
	v_sub_nc_u32_e32 v23, v23, v24
	v_mul_u32_u24_e32 v22, 0xd47, v22
	s_delay_alu instid0(VALU_DEP_2) | instskip(NEXT) | instid1(VALU_DEP_2)
	v_mul_lo_u32 v23, 0xbc8f, v23
	v_xor_b32_e32 v24, 0x7fffffff, v22
	v_sub_nc_u32_e32 v25, 0, v22
	s_delay_alu instid0(VALU_DEP_3) | instskip(NEXT) | instid1(VALU_DEP_2)
	v_cmp_lt_u32_e32 vcc_lo, v23, v22
	v_cndmask_b32_e32 v22, v25, v24, vcc_lo
	s_delay_alu instid0(VALU_DEP_1) | instskip(NEXT) | instid1(VALU_DEP_1)
	v_add_nc_u32_e32 v22, v22, v23
	v_mul_hi_u32 v23, 0xbc8f1391, v22
	s_delay_alu instid0(VALU_DEP_1) | instskip(NEXT) | instid1(VALU_DEP_1)
	v_lshrrev_b32_e32 v23, 15, v23
	v_mul_u32_u24_e32 v24, 0xadc8, v23
	v_mul_u32_u24_e32 v23, 0xd47, v23
	s_delay_alu instid0(VALU_DEP_1) | instskip(SKIP_1) | instid1(VALU_DEP_2)
	v_dual_sub_nc_u32 v24, v22, v24 :: v_dual_sub_nc_u32 v26, 0, v23
	v_xor_b32_e32 v25, 0x7fffffff, v23
	v_mul_lo_u32 v24, 0xbc8f, v24
	s_delay_alu instid0(VALU_DEP_1) | instskip(NEXT) | instid1(VALU_DEP_3)
	v_cmp_lt_u32_e32 vcc_lo, v24, v23
	v_cndmask_b32_e32 v23, v26, v25, vcc_lo
	s_delay_alu instid0(VALU_DEP_1) | instskip(NEXT) | instid1(VALU_DEP_1)
	v_add_nc_u32_e32 v23, v23, v24
	v_mul_hi_u32 v24, 0xbc8f1391, v23
	s_delay_alu instid0(VALU_DEP_1) | instskip(NEXT) | instid1(VALU_DEP_1)
	v_lshrrev_b32_e32 v24, 15, v24
	v_mul_u32_u24_e32 v25, 0xadc8, v24
	v_mul_u32_u24_e32 v24, 0xd47, v24
	s_delay_alu instid0(VALU_DEP_1) | instskip(SKIP_1) | instid1(VALU_DEP_2)
	v_dual_sub_nc_u32 v27, 0, v24 :: v_dual_sub_nc_u32 v25, v23, v25
	v_xor_b32_e32 v26, 0x7fffffff, v24
	v_mul_lo_u32 v25, 0xbc8f, v25
	s_delay_alu instid0(VALU_DEP_1) | instskip(NEXT) | instid1(VALU_DEP_3)
	v_cmp_lt_u32_e32 vcc_lo, v25, v24
	v_cndmask_b32_e32 v24, v27, v26, vcc_lo
	s_delay_alu instid0(VALU_DEP_1) | instskip(NEXT) | instid1(VALU_DEP_1)
	v_add_nc_u32_e32 v26, v24, v25
	v_mul_hi_u32 v24, 0xbc8f1391, v26
	s_delay_alu instid0(VALU_DEP_1) | instskip(NEXT) | instid1(VALU_DEP_1)
	v_lshrrev_b32_e32 v24, 15, v24
	v_mul_u32_u24_e32 v25, 0xadc8, v24
	s_delay_alu instid0(VALU_DEP_1) | instskip(NEXT) | instid1(VALU_DEP_1)
	v_sub_nc_u32_e32 v25, v26, v25
	v_mul_lo_u32 v27, 0xbc8f, v25
	v_mul_u32_u24_e32 v25, 0xd47, v24
	s_delay_alu instid0(VALU_DEP_1) | instskip(NEXT) | instid1(VALU_DEP_1)
	v_dual_add_nc_u32 v22, -1, v22 :: v_dual_sub_nc_u32 v32, 0, v25
	v_cvt_f32_u32_e32 v24, v22
	v_xor_b32_e32 v22, 0x7fffffff, v25
	v_cmp_lt_u32_e32 vcc_lo, v27, v25
	s_delay_alu instid0(VALU_DEP_2) | instskip(NEXT) | instid1(VALU_DEP_1)
	v_dual_cndmask_b32 v22, v32, v22 :: v_dual_add_nc_u32 v23, -1, v23
	v_cvt_f32_u32_e32 v25, v23
	s_delay_alu instid0(VALU_DEP_2) | instskip(NEXT) | instid1(VALU_DEP_2)
	v_dual_add_nc_u32 v23, v22, v27 :: v_dual_add_nc_u32 v22, -1, v26
	v_pk_fma_f32 v[24:25], v[24:25], s[14:15], 0 op_sel_hi:[1,0,0]
	s_delay_alu instid0(VALU_DEP_2) | instskip(NEXT) | instid1(VALU_DEP_2)
	v_cvt_f32_u32_e32 v26, v22
	v_pk_mul_f32 v[24:25], v[24:25], v[24:25]
	s_delay_alu instid0(VALU_DEP_1) | instskip(NEXT) | instid1(VALU_DEP_1)
	v_dual_add_f32 v22, v24, v25 :: v_dual_add_nc_u32 v27, -1, v23
	v_cvt_f32_u32_e32 v27, v27
	s_delay_alu instid0(VALU_DEP_2) | instskip(NEXT) | instid1(VALU_DEP_2)
	v_cmp_gt_f32_e32 vcc_lo, 0xf800000, v22
	v_pk_fma_f32 v[24:25], v[26:27], s[14:15], 0 op_sel_hi:[1,0,0]
	v_mul_f32_e32 v26, 0x4f800000, v22
	s_add_co_i32 s15, s15, -2
	s_delay_alu instid0(SALU_CYCLE_1) | instskip(NEXT) | instid1(VALU_DEP_2)
	s_cmp_lg_u32 s15, 0
	v_pk_mul_f32 v[24:25], v[24:25], v[24:25]
	s_delay_alu instid0(VALU_DEP_1) | instskip(NEXT) | instid1(VALU_DEP_1)
	v_dual_cndmask_b32 v22, v22, v26, vcc_lo :: v_dual_add_f32 v24, v24, v25
	v_sqrt_f32_e32 v25, v22
	s_delay_alu instid0(VALU_DEP_1)
	v_mul_f32_e32 v26, 0x4f800000, v24
	v_cmp_gt_f32_e64 s12, 0xf800000, v24
	s_delay_alu instid0(TRANS32_DEP_1) | instid1(VALU_DEP_1)
	v_dual_add_nc_u32 v27, -1, v25 :: v_dual_cndmask_b32 v24, v24, v26, s12
	s_delay_alu instid0(VALU_DEP_1) | instskip(NEXT) | instid1(VALU_DEP_2)
	v_dual_add_nc_u32 v26, 1, v25 :: v_dual_fma_f32 v32, -v27, v25, v22
	v_sqrt_f32_e32 v33, v24
	s_delay_alu instid0(VALU_DEP_1) | instskip(NEXT) | instid1(VALU_DEP_2)
	v_fma_f32 v34, -v26, v25, v22
	v_cmp_ge_f32_e64 s13, 0, v32
	s_delay_alu instid0(VALU_DEP_1) | instskip(NEXT) | instid1(VALU_DEP_3)
	v_cndmask_b32_e64 v25, v25, v27, s13
	v_cmp_lt_f32_e64 s13, 0, v34
	s_delay_alu instid0(TRANS32_DEP_1) | instid1(VALU_DEP_1)
	v_dual_add_nc_u32 v27, -1, v33 :: v_dual_cndmask_b32 v25, v25, v26, s13
	s_delay_alu instid0(VALU_DEP_1) | instskip(NEXT) | instid1(VALU_DEP_1)
	v_dual_fma_f32 v32, -v27, v33, v24 :: v_dual_add_nc_u32 v26, 1, v33
	v_cmp_ge_f32_e64 s13, 0, v32
	s_delay_alu instid0(VALU_DEP_1) | instskip(NEXT) | instid1(VALU_DEP_1)
	v_dual_fma_f32 v35, -v26, v33, v24 :: v_dual_cndmask_b32 v27, v33, v27, s13
	v_cmp_lt_f32_e64 s13, 0, v35
	s_delay_alu instid0(VALU_DEP_1) | instskip(SKIP_1) | instid1(VALU_DEP_1)
	v_cndmask_b32_e64 v26, v27, v26, s13
	v_mul_f32_e32 v34, 0x37800000, v25
	v_cndmask_b32_e32 v25, v25, v34, vcc_lo
	v_cmp_class_f32_e64 vcc_lo, v22, 0x260
	s_delay_alu instid0(VALU_DEP_2) | instskip(SKIP_1) | instid1(VALU_DEP_2)
	v_cndmask_b32_e32 v22, v25, v22, vcc_lo
	v_mul_f32_e32 v25, 0x37800000, v26
	v_cmp_nge_f32_e32 vcc_lo, 1.0, v22
	s_delay_alu instid0(VALU_DEP_2) | instskip(SKIP_1) | instid1(VALU_DEP_2)
	v_dual_cndmask_b32 v22, v26, v25, s12 :: v_dual_cndmask_b32 v14, v31, v14, vcc_lo
	v_cmp_class_f32_e64 vcc_lo, v24, 0x260
	v_dual_add_f32 v25, 1.0, v14 :: v_dual_cndmask_b32 v22, v22, v24
	s_delay_alu instid0(VALU_DEP_1) | instskip(NEXT) | instid1(VALU_DEP_2)
	v_cmp_nge_f32_e32 vcc_lo, 1.0, v22
	v_cndmask_b32_e32 v14, v25, v14, vcc_lo
	s_cbranch_scc1 .LBB27_989
; %bb.990:
	s_delay_alu instid0(VALU_DEP_1) | instskip(NEXT) | instid1(VALU_DEP_1)
	v_mul_f32_e32 v14, 4.0, v14
	v_div_scale_f32 v22, null, 0x459c4000, 0x459c4000, v14
	s_delay_alu instid0(VALU_DEP_1) | instskip(SKIP_1) | instid1(TRANS32_DEP_1)
	v_rcp_f32_e32 v23, v22
	v_nop
	v_fma_f32 v24, -v22, v23, 1.0
	s_delay_alu instid0(VALU_DEP_1) | instskip(SKIP_1) | instid1(VALU_DEP_1)
	v_fmac_f32_e32 v23, v24, v23
	v_div_scale_f32 v24, vcc_lo, v14, 0x459c4000, v14
	v_mul_f32_e32 v25, v24, v23
	s_delay_alu instid0(VALU_DEP_1) | instskip(NEXT) | instid1(VALU_DEP_1)
	v_fma_f32 v26, -v22, v25, v24
	v_fmac_f32_e32 v25, v26, v23
	s_delay_alu instid0(VALU_DEP_1) | instskip(NEXT) | instid1(VALU_DEP_1)
	v_fma_f32 v22, -v22, v25, v24
	v_div_fmas_f32 v22, v22, v23, v25
	s_delay_alu instid0(VALU_DEP_1)
	v_div_fixup_f32 v14, v22, 0x459c4000, v14
.LBB27_991:
	s_or_b32 exec_lo, exec_lo, s24
	v_add_nc_u32_e32 v22, 0xd00, v50
	s_delay_alu instid0(VALU_DEP_1)
	v_cmp_lt_u32_e64 s12, v22, v29
	s_and_saveexec_b32 s26, s12
	s_cbranch_execz .LBB27_1011
; %bb.992:
	v_dual_add_nc_u32 v17, v30, v22 :: v_dual_mov_b32 v23, 1
	s_mov_b32 s15, 0
	s_mov_b32 s13, exec_lo
	s_delay_alu instid0(VALU_DEP_1) | instskip(NEXT) | instid1(VALU_DEP_1)
	v_mul_lo_u32 v22, 0x1388, v17
	v_cmpx_ne_u32_e32 0, v22
	s_cbranch_execz .LBB27_1008
; %bb.993:
	v_mov_b32_e32 v23, 0
	v_mov_b64_e32 v[26:27], 1
	s_mov_b64 s[24:25], 0xbc8f
	s_mov_b64 s[16:17], 0xfffffffd
	;; [unrolled: 1-line block ×3, first 2 shown]
	v_mov_b64_e32 v[24:25], v[22:23]
	s_mov_b64 s[22:23], 0x80000001
	s_mov_b32 s27, 0
	s_branch .LBB27_995
.LBB27_994:                             ;   in Loop: Header=BB27_995 Depth=1
	s_or_b32 exec_lo, exec_lo, s14
	s_mul_u64 s[24:25], s[24:25], s[24:25]
	s_mov_b32 s43, s15
	s_and_b64 s[44:45], s[24:25], s[16:17]
	s_mov_b32 s14, s25
	s_mul_u64 s[46:47], s[44:45], 3
	s_mul_u64 s[56:57], s[14:15], 3
	s_mov_b32 s42, s47
	s_mul_u64 s[44:45], s[44:45], s[22:23]
	s_add_nc_u64 s[42:43], s[56:57], s[42:43]
	v_lshrrev_b64 v[32:33], 1, v[24:25]
	s_and_b64 s[56:57], s[42:43], s[20:21]
	s_mov_b32 s47, s15
	s_add_nc_u64 s[44:45], s[44:45], s[56:57]
	s_mov_b32 s59, s15
	s_mov_b32 s46, s43
	s_mov_b32 s58, s45
	s_mul_u64 s[44:45], s[14:15], s[22:23]
	s_add_nc_u64 s[42:43], s[46:47], s[58:59]
	v_cmp_gt_u64_e32 vcc_lo, 2, v[24:25]
	s_add_nc_u64 s[42:43], s[44:45], s[42:43]
	v_mov_b64_e32 v[24:25], v[32:33]
	s_lshr_b64 s[42:43], s[42:43], 30
	s_delay_alu instid0(SALU_CYCLE_1)
	s_mul_u64 s[42:43], s[42:43], 0x7fffffff
	s_or_b32 s27, vcc_lo, s27
	s_sub_nc_u64 s[24:25], s[24:25], s[42:43]
	s_and_not1_b32 exec_lo, exec_lo, s27
	s_cbranch_execz .LBB27_1007
.LBB27_995:                             ; =>This Inner Loop Header: Depth=1
	s_delay_alu instid0(VALU_DEP_1) | instskip(SKIP_1) | instid1(VALU_DEP_1)
	v_and_b32_e32 v17, 1, v24
	s_mov_b32 s14, exec_lo
	v_cmpx_eq_u32_e32 1, v17
	s_cbranch_execz .LBB27_994
; %bb.996:                              ;   in Loop: Header=BB27_995 Depth=1
	v_mul_u64_e32 v[26:27], s[24:25], v[26:27]
	s_delay_alu instid0(VALU_DEP_1) | instskip(NEXT) | instid1(VALU_DEP_1)
	v_mov_b32_e32 v22, v26
	v_mul_u64_e32 v[32:33], 5, v[22:23]
	s_delay_alu instid0(VALU_DEP_1) | instskip(NEXT) | instid1(VALU_DEP_1)
	v_mov_b32_e32 v22, v33
	v_mad_nc_u64_u32 v[32:33], v27, 5, v[22:23]
	s_delay_alu instid0(VALU_DEP_1) | instskip(NEXT) | instid1(VALU_DEP_1)
	v_dual_mov_b32 v22, v33 :: v_dual_mov_b32 v33, v23
	v_mad_nc_u64_u32 v[32:33], v26, 2, v[32:33]
	s_delay_alu instid0(VALU_DEP_1) | instskip(NEXT) | instid1(VALU_DEP_1)
	v_dual_mov_b32 v32, v33 :: v_dual_mov_b32 v33, v23
	v_add_nc_u64_e32 v[32:33], v[22:23], v[32:33]
	s_delay_alu instid0(VALU_DEP_1) | instskip(NEXT) | instid1(VALU_DEP_1)
	v_mad_nc_u64_u32 v[32:33], v27, 2, v[32:33]
	v_sub_nc_u64_e32 v[34:35], v[26:27], v[32:33]
	s_delay_alu instid0(VALU_DEP_1) | instskip(NEXT) | instid1(VALU_DEP_1)
	v_lshrrev_b64 v[34:35], 1, v[34:35]
	v_add_nc_u64_e32 v[32:33], v[34:35], v[32:33]
	s_delay_alu instid0(VALU_DEP_1) | instskip(NEXT) | instid1(VALU_DEP_1)
	v_lshrrev_b64 v[32:33], 30, v[32:33]
	v_mul_u64_e32 v[32:33], 0x7fffffff, v[32:33]
	s_delay_alu instid0(VALU_DEP_1)
	v_sub_nc_u64_e32 v[26:27], v[26:27], v[32:33]
	s_branch .LBB27_994
.LBB27_997:
	s_or_b32 exec_lo, exec_lo, s24
	v_add_min_u32_e64 v12, 0x80000001, v48, v48
	s_delay_alu instid0(VALU_DEP_1)
	v_add_min_u32_e64 v37, 0x80000001, v12, v12
.LBB27_998:
	s_or_b32 exec_lo, exec_lo, s23
	v_mov_b32_e32 v12, 0
	s_movk_i32 s15, 0x1388
	s_brev_b32 s14, 12
.LBB27_999:                             ; =>This Inner Loop Header: Depth=1
	v_mul_hi_u32 v36, 0xbc8f1391, v37
	s_delay_alu instid0(VALU_DEP_2) | instskip(NEXT) | instid1(VALU_DEP_2)
	v_add_f32_e32 v54, 1.0, v12
	v_lshrrev_b32_e32 v36, 15, v36
	s_delay_alu instid0(VALU_DEP_1) | instskip(NEXT) | instid1(VALU_DEP_1)
	v_mul_u32_u24_e32 v38, 0xadc8, v36
	v_sub_nc_u32_e32 v37, v37, v38
	v_mul_u32_u24_e32 v36, 0xd47, v36
	s_delay_alu instid0(VALU_DEP_2) | instskip(NEXT) | instid1(VALU_DEP_2)
	v_mul_lo_u32 v37, 0xbc8f, v37
	v_xor_b32_e32 v38, 0x7fffffff, v36
	v_sub_nc_u32_e32 v39, 0, v36
	s_delay_alu instid0(VALU_DEP_3) | instskip(NEXT) | instid1(VALU_DEP_2)
	v_cmp_lt_u32_e32 vcc_lo, v37, v36
	v_cndmask_b32_e32 v36, v39, v38, vcc_lo
	s_delay_alu instid0(VALU_DEP_1) | instskip(NEXT) | instid1(VALU_DEP_1)
	v_add_nc_u32_e32 v36, v36, v37
	v_mul_hi_u32 v37, 0xbc8f1391, v36
	s_delay_alu instid0(VALU_DEP_1) | instskip(NEXT) | instid1(VALU_DEP_1)
	v_lshrrev_b32_e32 v37, 15, v37
	v_mul_u32_u24_e32 v38, 0xadc8, v37
	v_mul_u32_u24_e32 v37, 0xd47, v37
	s_delay_alu instid0(VALU_DEP_1) | instskip(SKIP_1) | instid1(VALU_DEP_2)
	v_dual_sub_nc_u32 v38, v36, v38 :: v_dual_sub_nc_u32 v48, 0, v37
	v_xor_b32_e32 v39, 0x7fffffff, v37
	v_mul_lo_u32 v38, 0xbc8f, v38
	s_delay_alu instid0(VALU_DEP_1) | instskip(NEXT) | instid1(VALU_DEP_3)
	v_cmp_lt_u32_e32 vcc_lo, v38, v37
	v_cndmask_b32_e32 v37, v48, v39, vcc_lo
	s_delay_alu instid0(VALU_DEP_1) | instskip(NEXT) | instid1(VALU_DEP_1)
	v_add_nc_u32_e32 v37, v37, v38
	v_mul_hi_u32 v38, 0xbc8f1391, v37
	s_delay_alu instid0(VALU_DEP_1) | instskip(NEXT) | instid1(VALU_DEP_1)
	v_lshrrev_b32_e32 v38, 15, v38
	v_mul_u32_u24_e32 v39, 0xadc8, v38
	v_mul_u32_u24_e32 v38, 0xd47, v38
	s_delay_alu instid0(VALU_DEP_1) | instskip(SKIP_1) | instid1(VALU_DEP_2)
	v_dual_sub_nc_u32 v49, 0, v38 :: v_dual_sub_nc_u32 v39, v37, v39
	v_xor_b32_e32 v48, 0x7fffffff, v38
	v_mul_lo_u32 v39, 0xbc8f, v39
	s_delay_alu instid0(VALU_DEP_1) | instskip(NEXT) | instid1(VALU_DEP_3)
	v_cmp_lt_u32_e32 vcc_lo, v39, v38
	v_cndmask_b32_e32 v38, v49, v48, vcc_lo
	s_delay_alu instid0(VALU_DEP_1) | instskip(NEXT) | instid1(VALU_DEP_1)
	v_add_nc_u32_e32 v48, v38, v39
	v_mul_hi_u32 v38, 0xbc8f1391, v48
	s_delay_alu instid0(VALU_DEP_1) | instskip(NEXT) | instid1(VALU_DEP_1)
	v_lshrrev_b32_e32 v38, 15, v38
	v_mul_u32_u24_e32 v39, 0xadc8, v38
	s_delay_alu instid0(VALU_DEP_1) | instskip(NEXT) | instid1(VALU_DEP_1)
	v_sub_nc_u32_e32 v39, v48, v39
	v_mul_lo_u32 v49, 0xbc8f, v39
	v_mul_u32_u24_e32 v39, 0xd47, v38
	s_delay_alu instid0(VALU_DEP_1) | instskip(NEXT) | instid1(VALU_DEP_1)
	v_dual_add_nc_u32 v36, -1, v36 :: v_dual_sub_nc_u32 v55, 0, v39
	v_cvt_f32_u32_e32 v38, v36
	v_xor_b32_e32 v36, 0x7fffffff, v39
	v_cmp_lt_u32_e32 vcc_lo, v49, v39
	s_delay_alu instid0(VALU_DEP_2) | instskip(NEXT) | instid1(VALU_DEP_1)
	v_dual_cndmask_b32 v36, v55, v36 :: v_dual_add_nc_u32 v37, -1, v37
	v_cvt_f32_u32_e32 v39, v37
	s_delay_alu instid0(VALU_DEP_2) | instskip(NEXT) | instid1(VALU_DEP_2)
	v_dual_add_nc_u32 v37, v36, v49 :: v_dual_add_nc_u32 v36, -1, v48
	v_pk_fma_f32 v[38:39], v[38:39], s[14:15], 0 op_sel_hi:[1,0,0]
	s_delay_alu instid0(VALU_DEP_2) | instskip(NEXT) | instid1(VALU_DEP_2)
	v_cvt_f32_u32_e32 v48, v36
	v_pk_mul_f32 v[38:39], v[38:39], v[38:39]
	s_delay_alu instid0(VALU_DEP_1) | instskip(NEXT) | instid1(VALU_DEP_1)
	v_dual_add_f32 v36, v38, v39 :: v_dual_add_nc_u32 v49, -1, v37
	v_cvt_f32_u32_e32 v49, v49
	s_delay_alu instid0(VALU_DEP_2) | instskip(NEXT) | instid1(VALU_DEP_2)
	v_cmp_gt_f32_e32 vcc_lo, 0xf800000, v36
	v_pk_fma_f32 v[38:39], v[48:49], s[14:15], 0 op_sel_hi:[1,0,0]
	v_mul_f32_e32 v48, 0x4f800000, v36
	s_add_co_i32 s15, s15, -2
	s_delay_alu instid0(SALU_CYCLE_1) | instskip(NEXT) | instid1(VALU_DEP_2)
	s_cmp_lg_u32 s15, 0
	v_pk_mul_f32 v[38:39], v[38:39], v[38:39]
	s_delay_alu instid0(VALU_DEP_1) | instskip(NEXT) | instid1(VALU_DEP_1)
	v_dual_cndmask_b32 v36, v36, v48, vcc_lo :: v_dual_add_f32 v38, v38, v39
	v_sqrt_f32_e32 v39, v36
	s_delay_alu instid0(VALU_DEP_1)
	v_mul_f32_e32 v48, 0x4f800000, v38
	v_cmp_gt_f32_e64 s12, 0xf800000, v38
	s_delay_alu instid0(TRANS32_DEP_1) | instid1(VALU_DEP_1)
	v_dual_add_nc_u32 v49, -1, v39 :: v_dual_cndmask_b32 v38, v38, v48, s12
	s_delay_alu instid0(VALU_DEP_1) | instskip(NEXT) | instid1(VALU_DEP_2)
	v_dual_add_nc_u32 v48, 1, v39 :: v_dual_fma_f32 v55, -v49, v39, v36
	v_sqrt_f32_e32 v64, v38
	s_delay_alu instid0(VALU_DEP_1) | instskip(NEXT) | instid1(VALU_DEP_2)
	v_fma_f32 v65, -v48, v39, v36
	v_cmp_ge_f32_e64 s13, 0, v55
	s_delay_alu instid0(VALU_DEP_1) | instskip(NEXT) | instid1(VALU_DEP_3)
	v_cndmask_b32_e64 v39, v39, v49, s13
	v_cmp_lt_f32_e64 s13, 0, v65
	s_delay_alu instid0(TRANS32_DEP_1) | instskip(NEXT) | instid1(VALU_DEP_2)
	v_add_nc_u32_e32 v49, -1, v64
	v_cndmask_b32_e64 v39, v39, v48, s13
	s_delay_alu instid0(VALU_DEP_2) | instskip(NEXT) | instid1(VALU_DEP_1)
	v_dual_add_nc_u32 v48, 1, v64 :: v_dual_fma_f32 v55, -v49, v64, v38
	v_fma_f32 v66, -v48, v64, v38
	s_delay_alu instid0(VALU_DEP_2) | instskip(NEXT) | instid1(VALU_DEP_1)
	v_cmp_ge_f32_e64 s13, 0, v55
	v_cndmask_b32_e64 v49, v64, v49, s13
	v_mul_f32_e32 v65, 0x37800000, v39
	s_delay_alu instid0(VALU_DEP_4) | instskip(NEXT) | instid1(VALU_DEP_1)
	v_cmp_lt_f32_e64 s13, 0, v66
	v_dual_cndmask_b32 v39, v39, v65, vcc_lo :: v_dual_cndmask_b32 v48, v49, v48, s13
	v_cmp_class_f32_e64 vcc_lo, v36, 0x260
	s_delay_alu instid0(VALU_DEP_2) | instskip(NEXT) | instid1(VALU_DEP_1)
	v_cndmask_b32_e32 v36, v39, v36, vcc_lo
	v_cmp_nge_f32_e32 vcc_lo, 1.0, v36
	v_cndmask_b32_e32 v12, v54, v12, vcc_lo
	v_cmp_class_f32_e64 vcc_lo, v38, 0x260
	v_mul_f32_e32 v39, 0x37800000, v48
	s_delay_alu instid0(VALU_DEP_1) | instskip(NEXT) | instid1(VALU_DEP_1)
	v_dual_cndmask_b32 v36, v48, v39, s12 :: v_dual_add_f32 v39, 1.0, v12
	v_cndmask_b32_e32 v36, v36, v38, vcc_lo
	s_delay_alu instid0(VALU_DEP_1) | instskip(NEXT) | instid1(VALU_DEP_3)
	v_cmp_nge_f32_e32 vcc_lo, 1.0, v36
	v_cndmask_b32_e32 v12, v39, v12, vcc_lo
	s_cbranch_scc1 .LBB27_999
; %bb.1000:
	s_delay_alu instid0(VALU_DEP_1) | instskip(NEXT) | instid1(VALU_DEP_1)
	v_mul_f32_e32 v12, 4.0, v12
	v_div_scale_f32 v36, null, 0x459c4000, 0x459c4000, v12
	s_delay_alu instid0(VALU_DEP_1) | instskip(SKIP_1) | instid1(TRANS32_DEP_1)
	v_rcp_f32_e32 v37, v36
	v_nop
	v_fma_f32 v38, -v36, v37, 1.0
	s_delay_alu instid0(VALU_DEP_1) | instskip(SKIP_1) | instid1(VALU_DEP_1)
	v_fmac_f32_e32 v37, v38, v37
	v_div_scale_f32 v38, vcc_lo, v12, 0x459c4000, v12
	v_mul_f32_e32 v39, v38, v37
	s_delay_alu instid0(VALU_DEP_1) | instskip(NEXT) | instid1(VALU_DEP_1)
	v_fma_f32 v48, -v36, v39, v38
	v_fmac_f32_e32 v39, v48, v37
	s_delay_alu instid0(VALU_DEP_1) | instskip(NEXT) | instid1(VALU_DEP_1)
	v_fma_f32 v36, -v36, v39, v38
	v_div_fmas_f32 v36, v36, v37, v39
	s_delay_alu instid0(VALU_DEP_1)
	v_div_fixup_f32 v12, v36, 0x459c4000, v12
.LBB27_1001:
	s_or_b32 exec_lo, exec_lo, s22
	v_add_nc_u32_e32 v36, 0xd00, v50
	s_delay_alu instid0(VALU_DEP_1)
	v_cmp_lt_u32_e64 s12, v36, v52
	s_and_saveexec_b32 s24, s12
	s_cbranch_execz .LBB27_1021
; %bb.1002:
	v_dual_add_nc_u32 v13, v53, v36 :: v_dual_mov_b32 v37, 1
	s_mov_b32 s15, 0
	s_mov_b32 s13, exec_lo
	s_delay_alu instid0(VALU_DEP_1) | instskip(NEXT) | instid1(VALU_DEP_1)
	v_mul_lo_u32 v36, 0x1388, v13
	v_cmpx_ne_u32_e32 0, v36
	s_cbranch_execz .LBB27_1018
; %bb.1003:
	v_mov_b32_e32 v37, 0
	v_mov_b64_e32 v[48:49], 1
	s_mov_b64 s[22:23], 0xbc8f
	s_mov_b64 s[16:17], 0xfffffffd
	;; [unrolled: 1-line block ×3, first 2 shown]
	v_mov_b64_e32 v[38:39], v[36:37]
	s_mov_b64 s[20:21], 0x80000001
	s_mov_b32 s25, 0
	s_branch .LBB27_1005
.LBB27_1004:                            ;   in Loop: Header=BB27_1005 Depth=1
	s_or_b32 exec_lo, exec_lo, s14
	s_mul_u64 s[22:23], s[22:23], s[22:23]
	s_mov_b32 s27, s15
	s_and_b64 s[28:29], s[22:23], s[16:17]
	s_mov_b32 s14, s23
	s_mul_u64 s[40:41], s[28:29], 3
	s_mul_u64 s[42:43], s[14:15], 3
	s_mov_b32 s26, s41
	s_mul_u64 s[28:29], s[28:29], s[20:21]
	s_add_nc_u64 s[26:27], s[42:43], s[26:27]
	v_lshrrev_b64 v[54:55], 1, v[38:39]
	s_and_b64 s[42:43], s[26:27], s[18:19]
	s_mov_b32 s41, s15
	s_add_nc_u64 s[28:29], s[28:29], s[42:43]
	s_mov_b32 s47, s15
	s_mov_b32 s40, s27
	;; [unrolled: 1-line block ×3, first 2 shown]
	s_mul_u64 s[28:29], s[14:15], s[20:21]
	s_add_nc_u64 s[26:27], s[40:41], s[46:47]
	v_cmp_gt_u64_e32 vcc_lo, 2, v[38:39]
	s_add_nc_u64 s[26:27], s[28:29], s[26:27]
	v_mov_b64_e32 v[38:39], v[54:55]
	s_lshr_b64 s[26:27], s[26:27], 30
	s_delay_alu instid0(SALU_CYCLE_1)
	s_mul_u64 s[26:27], s[26:27], 0x7fffffff
	s_or_b32 s25, vcc_lo, s25
	s_sub_nc_u64 s[22:23], s[22:23], s[26:27]
	s_and_not1_b32 exec_lo, exec_lo, s25
	s_cbranch_execz .LBB27_1017
.LBB27_1005:                            ; =>This Inner Loop Header: Depth=1
	s_delay_alu instid0(VALU_DEP_1) | instskip(SKIP_1) | instid1(VALU_DEP_1)
	v_and_b32_e32 v13, 1, v38
	s_mov_b32 s14, exec_lo
	v_cmpx_eq_u32_e32 1, v13
	s_cbranch_execz .LBB27_1004
; %bb.1006:                             ;   in Loop: Header=BB27_1005 Depth=1
	v_mul_u64_e32 v[48:49], s[22:23], v[48:49]
	s_delay_alu instid0(VALU_DEP_1) | instskip(NEXT) | instid1(VALU_DEP_1)
	v_mov_b32_e32 v36, v48
	v_mul_u64_e32 v[54:55], 5, v[36:37]
	s_delay_alu instid0(VALU_DEP_1) | instskip(NEXT) | instid1(VALU_DEP_1)
	v_mov_b32_e32 v36, v55
	v_mad_nc_u64_u32 v[54:55], v49, 5, v[36:37]
	s_delay_alu instid0(VALU_DEP_1) | instskip(NEXT) | instid1(VALU_DEP_1)
	v_dual_mov_b32 v36, v55 :: v_dual_mov_b32 v55, v37
	v_mad_nc_u64_u32 v[54:55], v48, 2, v[54:55]
	s_delay_alu instid0(VALU_DEP_1) | instskip(NEXT) | instid1(VALU_DEP_1)
	v_dual_mov_b32 v54, v55 :: v_dual_mov_b32 v55, v37
	v_add_nc_u64_e32 v[54:55], v[36:37], v[54:55]
	s_delay_alu instid0(VALU_DEP_1) | instskip(NEXT) | instid1(VALU_DEP_1)
	v_mad_nc_u64_u32 v[54:55], v49, 2, v[54:55]
	v_sub_nc_u64_e32 v[64:65], v[48:49], v[54:55]
	s_delay_alu instid0(VALU_DEP_1) | instskip(NEXT) | instid1(VALU_DEP_1)
	v_lshrrev_b64 v[64:65], 1, v[64:65]
	v_add_nc_u64_e32 v[54:55], v[64:65], v[54:55]
	s_delay_alu instid0(VALU_DEP_1) | instskip(NEXT) | instid1(VALU_DEP_1)
	v_lshrrev_b64 v[54:55], 30, v[54:55]
	v_mul_u64_e32 v[54:55], 0x7fffffff, v[54:55]
	s_delay_alu instid0(VALU_DEP_1)
	v_sub_nc_u64_e32 v[48:49], v[48:49], v[54:55]
	s_branch .LBB27_1004
.LBB27_1007:
	s_or_b32 exec_lo, exec_lo, s27
	v_add_min_u32_e64 v17, 0x80000001, v26, v26
	s_delay_alu instid0(VALU_DEP_1)
	v_add_min_u32_e64 v23, 0x80000001, v17, v17
.LBB27_1008:
	s_or_b32 exec_lo, exec_lo, s13
	v_mov_b32_e32 v17, 0
	s_movk_i32 s15, 0x1388
	s_brev_b32 s16, 12
.LBB27_1009:                            ; =>This Inner Loop Header: Depth=1
	v_mul_hi_u32 v22, 0xbc8f1391, v23
	s_add_co_i32 s15, s15, -2
	s_delay_alu instid0(VALU_DEP_2) | instskip(SKIP_1) | instid1(VALU_DEP_2)
	v_add_f32_e32 v31, 1.0, v17
	s_cmp_lg_u32 s15, 0
	v_lshrrev_b32_e32 v22, 15, v22
	s_delay_alu instid0(VALU_DEP_1) | instskip(NEXT) | instid1(VALU_DEP_1)
	v_mul_u32_u24_e32 v24, 0xadc8, v22
	v_sub_nc_u32_e32 v23, v23, v24
	v_mul_u32_u24_e32 v22, 0xd47, v22
	s_delay_alu instid0(VALU_DEP_2) | instskip(NEXT) | instid1(VALU_DEP_2)
	v_mul_lo_u32 v23, 0xbc8f, v23
	v_xor_b32_e32 v24, 0x7fffffff, v22
	v_sub_nc_u32_e32 v25, 0, v22
	s_delay_alu instid0(VALU_DEP_3) | instskip(NEXT) | instid1(VALU_DEP_2)
	v_cmp_lt_u32_e32 vcc_lo, v23, v22
	v_cndmask_b32_e32 v22, v25, v24, vcc_lo
	s_delay_alu instid0(VALU_DEP_1) | instskip(NEXT) | instid1(VALU_DEP_1)
	v_add_nc_u32_e32 v22, v22, v23
	v_mul_hi_u32 v23, 0xbc8f1391, v22
	s_delay_alu instid0(VALU_DEP_1) | instskip(NEXT) | instid1(VALU_DEP_1)
	v_lshrrev_b32_e32 v23, 15, v23
	v_mul_u32_u24_e32 v24, 0xadc8, v23
	v_mul_u32_u24_e32 v23, 0xd47, v23
	s_delay_alu instid0(VALU_DEP_1) | instskip(SKIP_2) | instid1(VALU_DEP_3)
	v_dual_sub_nc_u32 v24, v22, v24 :: v_dual_sub_nc_u32 v26, 0, v23
	v_xor_b32_e32 v25, 0x7fffffff, v23
	v_add_nc_u32_e32 v22, -1, v22
	v_mul_lo_u32 v24, 0xbc8f, v24
	s_delay_alu instid0(VALU_DEP_1) | instskip(NEXT) | instid1(VALU_DEP_4)
	v_cmp_lt_u32_e32 vcc_lo, v24, v23
	v_cndmask_b32_e32 v23, v26, v25, vcc_lo
	s_delay_alu instid0(VALU_DEP_1) | instskip(NEXT) | instid1(VALU_DEP_1)
	v_add_nc_u32_e32 v23, v23, v24
	v_mul_hi_u32 v24, 0xbc8f1391, v23
	s_delay_alu instid0(VALU_DEP_1) | instskip(NEXT) | instid1(VALU_DEP_1)
	v_lshrrev_b32_e32 v24, 15, v24
	v_mul_u32_u24_e32 v25, 0xadc8, v24
	v_mul_u32_u24_e32 v24, 0xd47, v24
	s_delay_alu instid0(VALU_DEP_1) | instskip(SKIP_2) | instid1(VALU_DEP_3)
	v_dual_sub_nc_u32 v27, 0, v24 :: v_dual_sub_nc_u32 v25, v23, v25
	v_xor_b32_e32 v26, 0x7fffffff, v24
	v_add_nc_u32_e32 v23, -1, v23
	v_mul_lo_u32 v25, 0xbc8f, v25
	s_delay_alu instid0(VALU_DEP_1) | instskip(NEXT) | instid1(VALU_DEP_4)
	v_cmp_lt_u32_e32 vcc_lo, v25, v24
	v_cndmask_b32_e32 v24, v27, v26, vcc_lo
	s_delay_alu instid0(VALU_DEP_1) | instskip(NEXT) | instid1(VALU_DEP_1)
	v_add_nc_u32_e32 v26, v24, v25
	v_mul_hi_u32 v24, 0xbc8f1391, v26
	s_delay_alu instid0(VALU_DEP_1) | instskip(NEXT) | instid1(VALU_DEP_1)
	v_lshrrev_b32_e32 v24, 15, v24
	v_mul_u32_u24_e32 v25, 0xadc8, v24
	s_delay_alu instid0(VALU_DEP_1) | instskip(NEXT) | instid1(VALU_DEP_1)
	v_sub_nc_u32_e32 v25, v26, v25
	v_mul_lo_u32 v27, 0xbc8f, v25
	v_mul_u32_u24_e32 v25, 0xd47, v24
	v_cvt_f32_u32_e32 v24, v22
	s_delay_alu instid0(VALU_DEP_2) | instskip(SKIP_3) | instid1(VALU_DEP_3)
	v_xor_b32_e32 v22, 0x7fffffff, v25
	v_sub_nc_u32_e32 v32, 0, v25
	v_cmp_lt_u32_e32 vcc_lo, v27, v25
	v_cvt_f32_u32_e32 v25, v23
	v_cndmask_b32_e32 v22, v32, v22, vcc_lo
	s_delay_alu instid0(VALU_DEP_2) | instskip(NEXT) | instid1(VALU_DEP_2)
	v_pk_fma_f32 v[24:25], v[24:25], s[16:17], 0 op_sel_hi:[1,0,0]
	v_dual_add_nc_u32 v23, v22, v27 :: v_dual_add_nc_u32 v22, -1, v26
	s_delay_alu instid0(VALU_DEP_2) | instskip(NEXT) | instid1(VALU_DEP_2)
	v_pk_mul_f32 v[24:25], v[24:25], v[24:25]
	v_add_nc_u32_e32 v27, -1, v23
	s_delay_alu instid0(VALU_DEP_3) | instskip(NEXT) | instid1(VALU_DEP_3)
	v_cvt_f32_u32_e32 v26, v22
	v_add_f32_e32 v22, v24, v25
	s_delay_alu instid0(VALU_DEP_3) | instskip(NEXT) | instid1(VALU_DEP_2)
	v_cvt_f32_u32_e32 v27, v27
	v_cmp_gt_f32_e32 vcc_lo, 0xf800000, v22
	s_delay_alu instid0(VALU_DEP_2) | instskip(SKIP_1) | instid1(VALU_DEP_2)
	v_pk_fma_f32 v[24:25], v[26:27], s[16:17], 0 op_sel_hi:[1,0,0]
	v_mul_f32_e32 v26, 0x4f800000, v22
	v_pk_mul_f32 v[24:25], v[24:25], v[24:25]
	s_delay_alu instid0(VALU_DEP_1) | instskip(NEXT) | instid1(VALU_DEP_1)
	v_add_f32_e32 v24, v24, v25
	v_cmp_gt_f32_e64 s13, 0xf800000, v24
	s_delay_alu instid0(VALU_DEP_4) | instskip(SKIP_1) | instid1(VALU_DEP_1)
	v_cndmask_b32_e32 v22, v22, v26, vcc_lo
	v_mul_f32_e32 v26, 0x4f800000, v24
	v_cndmask_b32_e64 v24, v24, v26, s13
	s_delay_alu instid0(VALU_DEP_3) | instskip(NEXT) | instid1(VALU_DEP_1)
	v_sqrt_f32_e32 v25, v22
	v_sqrt_f32_e32 v33, v24
	s_delay_alu instid0(TRANS32_DEP_2) | instskip(NEXT) | instid1(VALU_DEP_1)
	v_dual_add_nc_u32 v27, -1, v25 :: v_dual_add_nc_u32 v26, 1, v25
	v_fma_f32 v32, -v27, v25, v22
	s_delay_alu instid0(VALU_DEP_1) | instskip(NEXT) | instid1(VALU_DEP_1)
	v_cmp_ge_f32_e64 s14, 0, v32
	v_dual_fma_f32 v34, -v26, v25, v22 :: v_dual_cndmask_b32 v25, v25, v27, s14
	s_delay_alu instid0(VALU_DEP_1)
	v_cmp_lt_f32_e64 s14, 0, v34
	s_delay_alu instid0(TRANS32_DEP_1) | instid1(VALU_DEP_1)
	v_dual_add_nc_u32 v27, -1, v33 :: v_dual_cndmask_b32 v25, v25, v26, s14
	s_delay_alu instid0(VALU_DEP_1) | instskip(NEXT) | instid1(VALU_DEP_1)
	v_dual_add_nc_u32 v26, 1, v33 :: v_dual_fma_f32 v32, -v27, v33, v24
	v_fma_f32 v35, -v26, v33, v24
	s_delay_alu instid0(VALU_DEP_2) | instskip(NEXT) | instid1(VALU_DEP_1)
	v_cmp_ge_f32_e64 s14, 0, v32
	v_cndmask_b32_e64 v27, v33, v27, s14
	s_delay_alu instid0(VALU_DEP_3) | instskip(NEXT) | instid1(VALU_DEP_1)
	v_cmp_lt_f32_e64 s14, 0, v35
	v_cndmask_b32_e64 v26, v27, v26, s14
	v_mul_f32_e32 v34, 0x37800000, v25
	s_delay_alu instid0(VALU_DEP_1) | instskip(SKIP_1) | instid1(VALU_DEP_2)
	v_cndmask_b32_e32 v25, v25, v34, vcc_lo
	v_cmp_class_f32_e64 vcc_lo, v22, 0x260
	v_cndmask_b32_e32 v22, v25, v22, vcc_lo
	v_mul_f32_e32 v25, 0x37800000, v26
	s_delay_alu instid0(VALU_DEP_2) | instskip(NEXT) | instid1(VALU_DEP_2)
	v_cmp_nge_f32_e32 vcc_lo, 1.0, v22
	v_cndmask_b32_e64 v22, v26, v25, s13
	v_cndmask_b32_e32 v17, v31, v17, vcc_lo
	v_cmp_class_f32_e64 vcc_lo, v24, 0x260
	s_delay_alu instid0(VALU_DEP_2) | instskip(NEXT) | instid1(VALU_DEP_1)
	v_dual_add_f32 v25, 1.0, v17 :: v_dual_cndmask_b32 v22, v22, v24
	v_cmp_nge_f32_e32 vcc_lo, 1.0, v22
	s_delay_alu instid0(VALU_DEP_2)
	v_cndmask_b32_e32 v17, v25, v17, vcc_lo
	s_cbranch_scc1 .LBB27_1009
; %bb.1010:
	s_delay_alu instid0(VALU_DEP_1) | instskip(NEXT) | instid1(VALU_DEP_1)
	v_mul_f32_e32 v17, 4.0, v17
	v_div_scale_f32 v22, null, 0x459c4000, 0x459c4000, v17
	s_delay_alu instid0(VALU_DEP_1) | instskip(SKIP_1) | instid1(TRANS32_DEP_1)
	v_rcp_f32_e32 v23, v22
	v_nop
	v_fma_f32 v24, -v22, v23, 1.0
	s_delay_alu instid0(VALU_DEP_1) | instskip(SKIP_1) | instid1(VALU_DEP_1)
	v_fmac_f32_e32 v23, v24, v23
	v_div_scale_f32 v24, vcc_lo, v17, 0x459c4000, v17
	v_mul_f32_e32 v25, v24, v23
	s_delay_alu instid0(VALU_DEP_1) | instskip(NEXT) | instid1(VALU_DEP_1)
	v_fma_f32 v26, -v22, v25, v24
	v_fmac_f32_e32 v25, v26, v23
	s_delay_alu instid0(VALU_DEP_1) | instskip(NEXT) | instid1(VALU_DEP_1)
	v_fma_f32 v22, -v22, v25, v24
	v_div_fmas_f32 v22, v22, v23, v25
	s_delay_alu instid0(VALU_DEP_1)
	v_div_fixup_f32 v17, v22, 0x459c4000, v17
.LBB27_1011:
	s_or_b32 exec_lo, exec_lo, s26
	v_add_nc_u32_e32 v22, 0xe00, v50
	s_delay_alu instid0(VALU_DEP_1)
	v_cmp_lt_u32_e64 s13, v22, v29
	s_and_saveexec_b32 s26, s13
	s_cbranch_execz .LBB27_1031
; %bb.1012:
	v_dual_mov_b32 v23, 1 :: v_dual_add_nc_u32 v16, v30, v22
	s_mov_b32 s15, 0
	s_mov_b32 s27, exec_lo
	s_delay_alu instid0(VALU_DEP_1) | instskip(NEXT) | instid1(VALU_DEP_1)
	v_mul_lo_u32 v22, 0x1388, v16
	v_cmpx_ne_u32_e32 0, v22
	s_cbranch_execz .LBB27_1028
; %bb.1013:
	v_mov_b32_e32 v23, 0
	v_mov_b64_e32 v[26:27], 1
	s_mov_b64 s[24:25], 0xbc8f
	s_mov_b64 s[16:17], 0xfffffffd
	;; [unrolled: 1-line block ×3, first 2 shown]
	v_mov_b64_e32 v[24:25], v[22:23]
	s_mov_b64 s[22:23], 0x80000001
	s_mov_b32 s41, 0
	s_branch .LBB27_1015
.LBB27_1014:                            ;   in Loop: Header=BB27_1015 Depth=1
	s_or_b32 exec_lo, exec_lo, s14
	s_mul_u64 s[24:25], s[24:25], s[24:25]
	s_mov_b32 s43, s15
	s_and_b64 s[44:45], s[24:25], s[16:17]
	s_mov_b32 s14, s25
	s_mul_u64 s[46:47], s[44:45], 3
	s_mul_u64 s[56:57], s[14:15], 3
	s_mov_b32 s42, s47
	s_mul_u64 s[44:45], s[44:45], s[22:23]
	s_add_nc_u64 s[42:43], s[56:57], s[42:43]
	v_lshrrev_b64 v[32:33], 1, v[24:25]
	s_and_b64 s[56:57], s[42:43], s[20:21]
	s_mov_b32 s47, s15
	s_add_nc_u64 s[44:45], s[44:45], s[56:57]
	s_mov_b32 s59, s15
	s_mov_b32 s46, s43
	;; [unrolled: 1-line block ×3, first 2 shown]
	s_mul_u64 s[44:45], s[14:15], s[22:23]
	s_add_nc_u64 s[42:43], s[46:47], s[58:59]
	v_cmp_gt_u64_e32 vcc_lo, 2, v[24:25]
	s_add_nc_u64 s[42:43], s[44:45], s[42:43]
	v_mov_b64_e32 v[24:25], v[32:33]
	s_lshr_b64 s[42:43], s[42:43], 30
	s_delay_alu instid0(SALU_CYCLE_1)
	s_mul_u64 s[42:43], s[42:43], 0x7fffffff
	s_or_b32 s41, vcc_lo, s41
	s_sub_nc_u64 s[24:25], s[24:25], s[42:43]
	s_and_not1_b32 exec_lo, exec_lo, s41
	s_cbranch_execz .LBB27_1027
.LBB27_1015:                            ; =>This Inner Loop Header: Depth=1
	s_delay_alu instid0(VALU_DEP_1) | instskip(SKIP_1) | instid1(VALU_DEP_1)
	v_and_b32_e32 v16, 1, v24
	s_mov_b32 s14, exec_lo
	v_cmpx_eq_u32_e32 1, v16
	s_cbranch_execz .LBB27_1014
; %bb.1016:                             ;   in Loop: Header=BB27_1015 Depth=1
	v_mul_u64_e32 v[26:27], s[24:25], v[26:27]
	s_delay_alu instid0(VALU_DEP_1) | instskip(NEXT) | instid1(VALU_DEP_1)
	v_mov_b32_e32 v22, v26
	v_mul_u64_e32 v[32:33], 5, v[22:23]
	s_delay_alu instid0(VALU_DEP_1) | instskip(NEXT) | instid1(VALU_DEP_1)
	v_mov_b32_e32 v22, v33
	v_mad_nc_u64_u32 v[32:33], v27, 5, v[22:23]
	s_delay_alu instid0(VALU_DEP_1) | instskip(NEXT) | instid1(VALU_DEP_1)
	v_dual_mov_b32 v22, v33 :: v_dual_mov_b32 v33, v23
	v_mad_nc_u64_u32 v[32:33], v26, 2, v[32:33]
	s_delay_alu instid0(VALU_DEP_1) | instskip(NEXT) | instid1(VALU_DEP_1)
	v_dual_mov_b32 v32, v33 :: v_dual_mov_b32 v33, v23
	v_add_nc_u64_e32 v[32:33], v[22:23], v[32:33]
	s_delay_alu instid0(VALU_DEP_1) | instskip(NEXT) | instid1(VALU_DEP_1)
	v_mad_nc_u64_u32 v[32:33], v27, 2, v[32:33]
	v_sub_nc_u64_e32 v[34:35], v[26:27], v[32:33]
	s_delay_alu instid0(VALU_DEP_1) | instskip(NEXT) | instid1(VALU_DEP_1)
	v_lshrrev_b64 v[34:35], 1, v[34:35]
	v_add_nc_u64_e32 v[32:33], v[34:35], v[32:33]
	s_delay_alu instid0(VALU_DEP_1) | instskip(NEXT) | instid1(VALU_DEP_1)
	v_lshrrev_b64 v[32:33], 30, v[32:33]
	v_mul_u64_e32 v[32:33], 0x7fffffff, v[32:33]
	s_delay_alu instid0(VALU_DEP_1)
	v_sub_nc_u64_e32 v[26:27], v[26:27], v[32:33]
	s_branch .LBB27_1014
.LBB27_1017:
	s_or_b32 exec_lo, exec_lo, s25
	v_add_min_u32_e64 v13, 0x80000001, v48, v48
	s_delay_alu instid0(VALU_DEP_1)
	v_add_min_u32_e64 v37, 0x80000001, v13, v13
.LBB27_1018:
	s_or_b32 exec_lo, exec_lo, s13
	v_mov_b32_e32 v13, 0
	s_movk_i32 s15, 0x1388
	s_brev_b32 s16, 12
.LBB27_1019:                            ; =>This Inner Loop Header: Depth=1
	v_mul_hi_u32 v36, 0xbc8f1391, v37
	s_add_co_i32 s15, s15, -2
	s_delay_alu instid0(VALU_DEP_2) | instskip(SKIP_1) | instid1(VALU_DEP_2)
	v_add_f32_e32 v54, 1.0, v13
	s_cmp_lg_u32 s15, 0
	v_lshrrev_b32_e32 v36, 15, v36
	s_delay_alu instid0(VALU_DEP_1) | instskip(NEXT) | instid1(VALU_DEP_1)
	v_mul_u32_u24_e32 v38, 0xadc8, v36
	v_sub_nc_u32_e32 v37, v37, v38
	v_mul_u32_u24_e32 v36, 0xd47, v36
	s_delay_alu instid0(VALU_DEP_2) | instskip(NEXT) | instid1(VALU_DEP_2)
	v_mul_lo_u32 v37, 0xbc8f, v37
	v_xor_b32_e32 v38, 0x7fffffff, v36
	v_sub_nc_u32_e32 v39, 0, v36
	s_delay_alu instid0(VALU_DEP_3) | instskip(NEXT) | instid1(VALU_DEP_2)
	v_cmp_lt_u32_e32 vcc_lo, v37, v36
	v_cndmask_b32_e32 v36, v39, v38, vcc_lo
	s_delay_alu instid0(VALU_DEP_1) | instskip(NEXT) | instid1(VALU_DEP_1)
	v_add_nc_u32_e32 v36, v36, v37
	v_mul_hi_u32 v37, 0xbc8f1391, v36
	s_delay_alu instid0(VALU_DEP_1) | instskip(NEXT) | instid1(VALU_DEP_1)
	v_lshrrev_b32_e32 v37, 15, v37
	v_mul_u32_u24_e32 v38, 0xadc8, v37
	v_mul_u32_u24_e32 v37, 0xd47, v37
	s_delay_alu instid0(VALU_DEP_1) | instskip(SKIP_2) | instid1(VALU_DEP_3)
	v_dual_sub_nc_u32 v38, v36, v38 :: v_dual_sub_nc_u32 v48, 0, v37
	v_xor_b32_e32 v39, 0x7fffffff, v37
	v_add_nc_u32_e32 v36, -1, v36
	v_mul_lo_u32 v38, 0xbc8f, v38
	s_delay_alu instid0(VALU_DEP_1) | instskip(NEXT) | instid1(VALU_DEP_4)
	v_cmp_lt_u32_e32 vcc_lo, v38, v37
	v_cndmask_b32_e32 v37, v48, v39, vcc_lo
	s_delay_alu instid0(VALU_DEP_1) | instskip(NEXT) | instid1(VALU_DEP_1)
	v_add_nc_u32_e32 v37, v37, v38
	v_mul_hi_u32 v38, 0xbc8f1391, v37
	s_delay_alu instid0(VALU_DEP_1) | instskip(NEXT) | instid1(VALU_DEP_1)
	v_lshrrev_b32_e32 v38, 15, v38
	v_mul_u32_u24_e32 v39, 0xadc8, v38
	v_mul_u32_u24_e32 v38, 0xd47, v38
	s_delay_alu instid0(VALU_DEP_1) | instskip(SKIP_2) | instid1(VALU_DEP_3)
	v_dual_sub_nc_u32 v49, 0, v38 :: v_dual_sub_nc_u32 v39, v37, v39
	v_xor_b32_e32 v48, 0x7fffffff, v38
	v_add_nc_u32_e32 v37, -1, v37
	v_mul_lo_u32 v39, 0xbc8f, v39
	s_delay_alu instid0(VALU_DEP_1) | instskip(NEXT) | instid1(VALU_DEP_4)
	v_cmp_lt_u32_e32 vcc_lo, v39, v38
	v_cndmask_b32_e32 v38, v49, v48, vcc_lo
	s_delay_alu instid0(VALU_DEP_1) | instskip(NEXT) | instid1(VALU_DEP_1)
	v_add_nc_u32_e32 v48, v38, v39
	v_mul_hi_u32 v38, 0xbc8f1391, v48
	s_delay_alu instid0(VALU_DEP_1) | instskip(NEXT) | instid1(VALU_DEP_1)
	v_lshrrev_b32_e32 v38, 15, v38
	v_mul_u32_u24_e32 v39, 0xadc8, v38
	s_delay_alu instid0(VALU_DEP_1) | instskip(NEXT) | instid1(VALU_DEP_1)
	v_sub_nc_u32_e32 v39, v48, v39
	v_mul_lo_u32 v49, 0xbc8f, v39
	v_mul_u32_u24_e32 v39, 0xd47, v38
	v_cvt_f32_u32_e32 v38, v36
	s_delay_alu instid0(VALU_DEP_2) | instskip(SKIP_3) | instid1(VALU_DEP_3)
	v_xor_b32_e32 v36, 0x7fffffff, v39
	v_sub_nc_u32_e32 v55, 0, v39
	v_cmp_lt_u32_e32 vcc_lo, v49, v39
	v_cvt_f32_u32_e32 v39, v37
	v_cndmask_b32_e32 v36, v55, v36, vcc_lo
	s_delay_alu instid0(VALU_DEP_2) | instskip(NEXT) | instid1(VALU_DEP_2)
	v_pk_fma_f32 v[38:39], v[38:39], s[16:17], 0 op_sel_hi:[1,0,0]
	v_dual_add_nc_u32 v37, v36, v49 :: v_dual_add_nc_u32 v36, -1, v48
	s_delay_alu instid0(VALU_DEP_2) | instskip(NEXT) | instid1(VALU_DEP_2)
	v_pk_mul_f32 v[38:39], v[38:39], v[38:39]
	v_add_nc_u32_e32 v49, -1, v37
	s_delay_alu instid0(VALU_DEP_3) | instskip(NEXT) | instid1(VALU_DEP_3)
	v_cvt_f32_u32_e32 v48, v36
	v_add_f32_e32 v36, v38, v39
	s_delay_alu instid0(VALU_DEP_3) | instskip(NEXT) | instid1(VALU_DEP_2)
	v_cvt_f32_u32_e32 v49, v49
	v_cmp_gt_f32_e32 vcc_lo, 0xf800000, v36
	s_delay_alu instid0(VALU_DEP_2) | instskip(SKIP_1) | instid1(VALU_DEP_2)
	v_pk_fma_f32 v[38:39], v[48:49], s[16:17], 0 op_sel_hi:[1,0,0]
	v_mul_f32_e32 v48, 0x4f800000, v36
	v_pk_mul_f32 v[38:39], v[38:39], v[38:39]
	s_delay_alu instid0(VALU_DEP_1) | instskip(NEXT) | instid1(VALU_DEP_1)
	v_add_f32_e32 v38, v38, v39
	v_cmp_gt_f32_e64 s13, 0xf800000, v38
	s_delay_alu instid0(VALU_DEP_4) | instskip(SKIP_1) | instid1(VALU_DEP_1)
	v_cndmask_b32_e32 v36, v36, v48, vcc_lo
	v_mul_f32_e32 v48, 0x4f800000, v38
	v_cndmask_b32_e64 v38, v38, v48, s13
	s_delay_alu instid0(VALU_DEP_3) | instskip(NEXT) | instid1(VALU_DEP_1)
	v_sqrt_f32_e32 v39, v36
	v_sqrt_f32_e32 v64, v38
	s_delay_alu instid0(TRANS32_DEP_2) | instskip(NEXT) | instid1(VALU_DEP_1)
	v_dual_add_nc_u32 v49, -1, v39 :: v_dual_add_nc_u32 v48, 1, v39
	v_fma_f32 v55, -v49, v39, v36
	s_delay_alu instid0(VALU_DEP_1) | instskip(NEXT) | instid1(VALU_DEP_1)
	v_cmp_ge_f32_e64 s14, 0, v55
	v_dual_fma_f32 v65, -v48, v39, v36 :: v_dual_cndmask_b32 v39, v39, v49, s14
	s_delay_alu instid0(VALU_DEP_1) | instskip(NEXT) | instid1(TRANS32_DEP_1)
	v_cmp_lt_f32_e64 s14, 0, v65
	v_add_nc_u32_e32 v49, -1, v64
	s_delay_alu instid0(VALU_DEP_2) | instskip(NEXT) | instid1(VALU_DEP_2)
	v_cndmask_b32_e64 v39, v39, v48, s14
	v_dual_add_nc_u32 v48, 1, v64 :: v_dual_fma_f32 v55, -v49, v64, v38
	s_delay_alu instid0(VALU_DEP_1) | instskip(NEXT) | instid1(VALU_DEP_1)
	v_cmp_ge_f32_e64 s14, 0, v55
	v_cndmask_b32_e64 v49, v64, v49, s14
	s_delay_alu instid0(VALU_DEP_4) | instskip(NEXT) | instid1(VALU_DEP_1)
	v_mul_f32_e32 v65, 0x37800000, v39
	v_cndmask_b32_e32 v39, v39, v65, vcc_lo
	v_cmp_class_f32_e64 vcc_lo, v36, 0x260
	s_delay_alu instid0(VALU_DEP_2) | instskip(NEXT) | instid1(VALU_DEP_1)
	v_cndmask_b32_e32 v36, v39, v36, vcc_lo
	v_cmp_nge_f32_e32 vcc_lo, 1.0, v36
	s_delay_alu instid0(VALU_DEP_3) | instskip(NEXT) | instid1(VALU_DEP_1)
	v_dual_fma_f32 v66, -v48, v64, v38 :: v_dual_cndmask_b32 v13, v54, v13, vcc_lo
	v_cmp_lt_f32_e64 s14, 0, v66
	v_cmp_class_f32_e64 vcc_lo, v38, 0x260
	s_delay_alu instid0(VALU_DEP_2) | instskip(NEXT) | instid1(VALU_DEP_1)
	v_cndmask_b32_e64 v48, v49, v48, s14
	v_mul_f32_e32 v39, 0x37800000, v48
	s_delay_alu instid0(VALU_DEP_1) | instskip(NEXT) | instid1(VALU_DEP_1)
	v_dual_cndmask_b32 v36, v48, v39, s13 :: v_dual_add_f32 v39, 1.0, v13
	v_cndmask_b32_e32 v36, v36, v38, vcc_lo
	s_delay_alu instid0(VALU_DEP_1) | instskip(NEXT) | instid1(VALU_DEP_3)
	v_cmp_nge_f32_e32 vcc_lo, 1.0, v36
	v_cndmask_b32_e32 v13, v39, v13, vcc_lo
	s_cbranch_scc1 .LBB27_1019
; %bb.1020:
	s_delay_alu instid0(VALU_DEP_1) | instskip(NEXT) | instid1(VALU_DEP_1)
	v_mul_f32_e32 v13, 4.0, v13
	v_div_scale_f32 v36, null, 0x459c4000, 0x459c4000, v13
	s_delay_alu instid0(VALU_DEP_1) | instskip(SKIP_1) | instid1(TRANS32_DEP_1)
	v_rcp_f32_e32 v37, v36
	v_nop
	v_fma_f32 v38, -v36, v37, 1.0
	s_delay_alu instid0(VALU_DEP_1) | instskip(SKIP_1) | instid1(VALU_DEP_1)
	v_fmac_f32_e32 v37, v38, v37
	v_div_scale_f32 v38, vcc_lo, v13, 0x459c4000, v13
	v_mul_f32_e32 v39, v38, v37
	s_delay_alu instid0(VALU_DEP_1) | instskip(NEXT) | instid1(VALU_DEP_1)
	v_fma_f32 v48, -v36, v39, v38
	v_fmac_f32_e32 v39, v48, v37
	s_delay_alu instid0(VALU_DEP_1) | instskip(NEXT) | instid1(VALU_DEP_1)
	v_fma_f32 v36, -v36, v39, v38
	v_div_fmas_f32 v36, v36, v37, v39
	s_delay_alu instid0(VALU_DEP_1)
	v_div_fixup_f32 v13, v36, 0x459c4000, v13
.LBB27_1021:
	s_or_b32 exec_lo, exec_lo, s24
	v_add_nc_u32_e32 v36, 0xe00, v50
	s_delay_alu instid0(VALU_DEP_1)
	v_cmp_lt_u32_e64 s13, v36, v52
	s_and_saveexec_b32 s24, s13
	s_cbranch_execz .LBB27_1041
; %bb.1022:
	v_dual_mov_b32 v37, 1 :: v_dual_add_nc_u32 v14, v53, v36
	s_mov_b32 s15, 0
	s_mov_b32 s25, exec_lo
	s_delay_alu instid0(VALU_DEP_1) | instskip(NEXT) | instid1(VALU_DEP_1)
	v_mul_lo_u32 v36, 0x1388, v14
	v_cmpx_ne_u32_e32 0, v36
	s_cbranch_execz .LBB27_1038
; %bb.1023:
	v_mov_b32_e32 v37, 0
	v_mov_b64_e32 v[48:49], 1
	s_mov_b64 s[22:23], 0xbc8f
	s_mov_b64 s[16:17], 0xfffffffd
	;; [unrolled: 1-line block ×3, first 2 shown]
	v_mov_b64_e32 v[38:39], v[36:37]
	s_mov_b64 s[20:21], 0x80000001
	s_mov_b32 s26, 0
	s_branch .LBB27_1025
.LBB27_1024:                            ;   in Loop: Header=BB27_1025 Depth=1
	s_or_b32 exec_lo, exec_lo, s14
	s_mul_u64 s[22:23], s[22:23], s[22:23]
	s_mov_b32 s29, s15
	s_and_b64 s[40:41], s[22:23], s[16:17]
	s_mov_b32 s14, s23
	s_mul_u64 s[42:43], s[40:41], 3
	s_mul_u64 s[46:47], s[14:15], 3
	s_mov_b32 s28, s43
	s_mul_u64 s[40:41], s[40:41], s[20:21]
	s_add_nc_u64 s[28:29], s[46:47], s[28:29]
	v_lshrrev_b64 v[54:55], 1, v[38:39]
	s_and_b64 s[46:47], s[28:29], s[18:19]
	s_mov_b32 s43, s15
	s_add_nc_u64 s[40:41], s[40:41], s[46:47]
	s_mov_b32 s57, s15
	s_mov_b32 s42, s29
	;; [unrolled: 1-line block ×3, first 2 shown]
	s_mul_u64 s[40:41], s[14:15], s[20:21]
	s_add_nc_u64 s[28:29], s[42:43], s[56:57]
	v_cmp_gt_u64_e32 vcc_lo, 2, v[38:39]
	s_add_nc_u64 s[28:29], s[40:41], s[28:29]
	v_mov_b64_e32 v[38:39], v[54:55]
	s_lshr_b64 s[28:29], s[28:29], 30
	s_delay_alu instid0(SALU_CYCLE_1)
	s_mul_u64 s[28:29], s[28:29], 0x7fffffff
	s_or_b32 s26, vcc_lo, s26
	s_sub_nc_u64 s[22:23], s[22:23], s[28:29]
	s_and_not1_b32 exec_lo, exec_lo, s26
	s_cbranch_execz .LBB27_1037
.LBB27_1025:                            ; =>This Inner Loop Header: Depth=1
	s_delay_alu instid0(VALU_DEP_1) | instskip(SKIP_1) | instid1(VALU_DEP_1)
	v_and_b32_e32 v14, 1, v38
	s_mov_b32 s14, exec_lo
	v_cmpx_eq_u32_e32 1, v14
	s_cbranch_execz .LBB27_1024
; %bb.1026:                             ;   in Loop: Header=BB27_1025 Depth=1
	v_mul_u64_e32 v[48:49], s[22:23], v[48:49]
	s_delay_alu instid0(VALU_DEP_1) | instskip(NEXT) | instid1(VALU_DEP_1)
	v_mov_b32_e32 v36, v48
	v_mul_u64_e32 v[54:55], 5, v[36:37]
	s_delay_alu instid0(VALU_DEP_1) | instskip(NEXT) | instid1(VALU_DEP_1)
	v_mov_b32_e32 v36, v55
	v_mad_nc_u64_u32 v[54:55], v49, 5, v[36:37]
	s_delay_alu instid0(VALU_DEP_1) | instskip(NEXT) | instid1(VALU_DEP_1)
	v_dual_mov_b32 v36, v55 :: v_dual_mov_b32 v55, v37
	v_mad_nc_u64_u32 v[54:55], v48, 2, v[54:55]
	s_delay_alu instid0(VALU_DEP_1) | instskip(NEXT) | instid1(VALU_DEP_1)
	v_dual_mov_b32 v54, v55 :: v_dual_mov_b32 v55, v37
	v_add_nc_u64_e32 v[54:55], v[36:37], v[54:55]
	s_delay_alu instid0(VALU_DEP_1) | instskip(NEXT) | instid1(VALU_DEP_1)
	v_mad_nc_u64_u32 v[54:55], v49, 2, v[54:55]
	v_sub_nc_u64_e32 v[64:65], v[48:49], v[54:55]
	s_delay_alu instid0(VALU_DEP_1) | instskip(NEXT) | instid1(VALU_DEP_1)
	v_lshrrev_b64 v[64:65], 1, v[64:65]
	v_add_nc_u64_e32 v[54:55], v[64:65], v[54:55]
	s_delay_alu instid0(VALU_DEP_1) | instskip(NEXT) | instid1(VALU_DEP_1)
	v_lshrrev_b64 v[54:55], 30, v[54:55]
	v_mul_u64_e32 v[54:55], 0x7fffffff, v[54:55]
	s_delay_alu instid0(VALU_DEP_1)
	v_sub_nc_u64_e32 v[48:49], v[48:49], v[54:55]
	s_branch .LBB27_1024
.LBB27_1027:
	s_or_b32 exec_lo, exec_lo, s41
	v_add_min_u32_e64 v16, 0x80000001, v26, v26
	s_delay_alu instid0(VALU_DEP_1)
	v_add_min_u32_e64 v23, 0x80000001, v16, v16
.LBB27_1028:
	s_or_b32 exec_lo, exec_lo, s27
	v_mov_b32_e32 v16, 0
	s_movk_i32 s17, 0x1388
	s_brev_b32 s16, 12
.LBB27_1029:                            ; =>This Inner Loop Header: Depth=1
	v_mul_hi_u32 v22, 0xbc8f1391, v23
	s_delay_alu instid0(VALU_DEP_1) | instskip(NEXT) | instid1(VALU_DEP_1)
	v_dual_add_f32 v31, 1.0, v16 :: v_dual_lshrrev_b32 v22, 15, v22
	v_mul_u32_u24_e32 v24, 0xadc8, v22
	s_delay_alu instid0(VALU_DEP_1) | instskip(SKIP_1) | instid1(VALU_DEP_2)
	v_sub_nc_u32_e32 v23, v23, v24
	v_mul_u32_u24_e32 v22, 0xd47, v22
	v_mul_lo_u32 v23, 0xbc8f, v23
	s_delay_alu instid0(VALU_DEP_2) | instskip(SKIP_1) | instid1(VALU_DEP_3)
	v_xor_b32_e32 v24, 0x7fffffff, v22
	v_sub_nc_u32_e32 v25, 0, v22
	v_cmp_lt_u32_e32 vcc_lo, v23, v22
	s_delay_alu instid0(VALU_DEP_2) | instskip(NEXT) | instid1(VALU_DEP_1)
	v_cndmask_b32_e32 v22, v25, v24, vcc_lo
	v_add_nc_u32_e32 v22, v22, v23
	s_delay_alu instid0(VALU_DEP_1) | instskip(NEXT) | instid1(VALU_DEP_1)
	v_mul_hi_u32 v23, 0xbc8f1391, v22
	v_lshrrev_b32_e32 v23, 15, v23
	s_delay_alu instid0(VALU_DEP_1) | instskip(SKIP_1) | instid1(VALU_DEP_1)
	v_mul_u32_u24_e32 v24, 0xadc8, v23
	v_mul_u32_u24_e32 v23, 0xd47, v23
	v_dual_sub_nc_u32 v24, v22, v24 :: v_dual_sub_nc_u32 v26, 0, v23
	v_xor_b32_e32 v25, 0x7fffffff, v23
	v_add_nc_u32_e32 v22, -1, v22
	s_delay_alu instid0(VALU_DEP_3) | instskip(NEXT) | instid1(VALU_DEP_1)
	v_mul_lo_u32 v24, 0xbc8f, v24
	v_cmp_lt_u32_e32 vcc_lo, v24, v23
	s_delay_alu instid0(VALU_DEP_4) | instskip(NEXT) | instid1(VALU_DEP_1)
	v_cndmask_b32_e32 v23, v26, v25, vcc_lo
	v_add_nc_u32_e32 v23, v23, v24
	s_delay_alu instid0(VALU_DEP_1) | instskip(NEXT) | instid1(VALU_DEP_1)
	v_mul_hi_u32 v24, 0xbc8f1391, v23
	v_lshrrev_b32_e32 v24, 15, v24
	s_delay_alu instid0(VALU_DEP_1) | instskip(SKIP_1) | instid1(VALU_DEP_1)
	v_mul_u32_u24_e32 v25, 0xadc8, v24
	v_mul_u32_u24_e32 v24, 0xd47, v24
	v_dual_sub_nc_u32 v27, 0, v24 :: v_dual_sub_nc_u32 v25, v23, v25
	v_xor_b32_e32 v26, 0x7fffffff, v24
	v_add_nc_u32_e32 v23, -1, v23
	s_delay_alu instid0(VALU_DEP_3) | instskip(NEXT) | instid1(VALU_DEP_1)
	v_mul_lo_u32 v25, 0xbc8f, v25
	v_cmp_lt_u32_e32 vcc_lo, v25, v24
	s_delay_alu instid0(VALU_DEP_4) | instskip(NEXT) | instid1(VALU_DEP_1)
	v_cndmask_b32_e32 v24, v27, v26, vcc_lo
	v_add_nc_u32_e32 v26, v24, v25
	s_delay_alu instid0(VALU_DEP_1) | instskip(NEXT) | instid1(VALU_DEP_1)
	v_mul_hi_u32 v24, 0xbc8f1391, v26
	v_lshrrev_b32_e32 v24, 15, v24
	s_delay_alu instid0(VALU_DEP_1) | instskip(NEXT) | instid1(VALU_DEP_1)
	v_mul_u32_u24_e32 v25, 0xadc8, v24
	v_sub_nc_u32_e32 v25, v26, v25
	s_delay_alu instid0(VALU_DEP_1) | instskip(SKIP_2) | instid1(VALU_DEP_2)
	v_mul_lo_u32 v27, 0xbc8f, v25
	v_mul_u32_u24_e32 v25, 0xd47, v24
	v_cvt_f32_u32_e32 v24, v22
	v_xor_b32_e32 v22, 0x7fffffff, v25
	v_sub_nc_u32_e32 v32, 0, v25
	v_cmp_lt_u32_e32 vcc_lo, v27, v25
	v_cvt_f32_u32_e32 v25, v23
	s_delay_alu instid0(VALU_DEP_3) | instskip(NEXT) | instid1(VALU_DEP_2)
	v_cndmask_b32_e32 v22, v32, v22, vcc_lo
	v_pk_fma_f32 v[24:25], v[24:25], s[16:17], 0 op_sel_hi:[1,0,0]
	s_delay_alu instid0(VALU_DEP_2) | instskip(NEXT) | instid1(VALU_DEP_2)
	v_dual_add_nc_u32 v23, v22, v27 :: v_dual_add_nc_u32 v22, -1, v26
	v_pk_mul_f32 v[24:25], v[24:25], v[24:25]
	s_delay_alu instid0(VALU_DEP_2) | instskip(NEXT) | instid1(VALU_DEP_3)
	v_add_nc_u32_e32 v27, -1, v23
	v_cvt_f32_u32_e32 v26, v22
	s_delay_alu instid0(VALU_DEP_3) | instskip(NEXT) | instid1(VALU_DEP_3)
	v_add_f32_e32 v22, v24, v25
	v_cvt_f32_u32_e32 v27, v27
	s_delay_alu instid0(VALU_DEP_2) | instskip(NEXT) | instid1(VALU_DEP_2)
	v_cmp_gt_f32_e32 vcc_lo, 0xf800000, v22
	v_pk_fma_f32 v[24:25], v[26:27], s[16:17], 0 op_sel_hi:[1,0,0]
	v_mul_f32_e32 v26, 0x4f800000, v22
	s_add_co_i32 s17, s17, -2
	s_delay_alu instid0(SALU_CYCLE_1) | instskip(NEXT) | instid1(VALU_DEP_2)
	s_cmp_lg_u32 s17, 0
	v_pk_mul_f32 v[24:25], v[24:25], v[24:25]
	s_delay_alu instid0(VALU_DEP_1) | instskip(NEXT) | instid1(VALU_DEP_1)
	v_add_f32_e32 v24, v24, v25
	v_cmp_gt_f32_e64 s14, 0xf800000, v24
	v_cndmask_b32_e32 v22, v22, v26, vcc_lo
	v_mul_f32_e32 v26, 0x4f800000, v24
	s_delay_alu instid0(VALU_DEP_1) | instskip(NEXT) | instid1(VALU_DEP_3)
	v_cndmask_b32_e64 v24, v24, v26, s14
	v_sqrt_f32_e32 v25, v22
	s_delay_alu instid0(VALU_DEP_1) | instskip(NEXT) | instid1(TRANS32_DEP_2)
	v_sqrt_f32_e32 v33, v24
	v_dual_add_nc_u32 v27, -1, v25 :: v_dual_add_nc_u32 v26, 1, v25
	s_delay_alu instid0(VALU_DEP_1) | instskip(NEXT) | instid1(VALU_DEP_1)
	v_fma_f32 v32, -v27, v25, v22
	v_cmp_ge_f32_e64 s15, 0, v32
	s_delay_alu instid0(VALU_DEP_1) | instskip(NEXT) | instid1(VALU_DEP_1)
	v_dual_fma_f32 v34, -v26, v25, v22 :: v_dual_cndmask_b32 v25, v25, v27, s15
	v_cmp_lt_f32_e64 s15, 0, v34
	s_delay_alu instid0(TRANS32_DEP_1) | instid1(VALU_DEP_1)
	v_dual_add_nc_u32 v27, -1, v33 :: v_dual_cndmask_b32 v25, v25, v26, s15
	s_delay_alu instid0(VALU_DEP_1) | instskip(NEXT) | instid1(VALU_DEP_1)
	v_dual_add_nc_u32 v26, 1, v33 :: v_dual_fma_f32 v32, -v27, v33, v24
	v_fma_f32 v35, -v26, v33, v24
	s_delay_alu instid0(VALU_DEP_2) | instskip(NEXT) | instid1(VALU_DEP_1)
	v_cmp_ge_f32_e64 s15, 0, v32
	v_cndmask_b32_e64 v27, v33, v27, s15
	s_delay_alu instid0(VALU_DEP_3) | instskip(NEXT) | instid1(VALU_DEP_1)
	v_cmp_lt_f32_e64 s15, 0, v35
	v_cndmask_b32_e64 v26, v27, v26, s15
	v_mul_f32_e32 v34, 0x37800000, v25
	s_delay_alu instid0(VALU_DEP_1) | instskip(SKIP_1) | instid1(VALU_DEP_2)
	v_cndmask_b32_e32 v25, v25, v34, vcc_lo
	v_cmp_class_f32_e64 vcc_lo, v22, 0x260
	v_cndmask_b32_e32 v22, v25, v22, vcc_lo
	v_mul_f32_e32 v25, 0x37800000, v26
	s_delay_alu instid0(VALU_DEP_2) | instskip(NEXT) | instid1(VALU_DEP_2)
	v_cmp_nge_f32_e32 vcc_lo, 1.0, v22
	v_dual_cndmask_b32 v22, v26, v25, s14 :: v_dual_cndmask_b32 v16, v31, v16, vcc_lo
	v_cmp_class_f32_e64 vcc_lo, v24, 0x260
	s_delay_alu instid0(VALU_DEP_2) | instskip(NEXT) | instid1(VALU_DEP_3)
	v_add_f32_e32 v25, 1.0, v16
	v_cndmask_b32_e32 v22, v22, v24, vcc_lo
	s_delay_alu instid0(VALU_DEP_1) | instskip(NEXT) | instid1(VALU_DEP_3)
	v_cmp_nge_f32_e32 vcc_lo, 1.0, v22
	v_cndmask_b32_e32 v16, v25, v16, vcc_lo
	s_cbranch_scc1 .LBB27_1029
; %bb.1030:
	s_delay_alu instid0(VALU_DEP_1) | instskip(NEXT) | instid1(VALU_DEP_1)
	v_mul_f32_e32 v16, 4.0, v16
	v_div_scale_f32 v22, null, 0x459c4000, 0x459c4000, v16
	s_delay_alu instid0(VALU_DEP_1) | instskip(SKIP_1) | instid1(TRANS32_DEP_1)
	v_rcp_f32_e32 v23, v22
	v_nop
	v_fma_f32 v24, -v22, v23, 1.0
	s_delay_alu instid0(VALU_DEP_1) | instskip(SKIP_1) | instid1(VALU_DEP_1)
	v_fmac_f32_e32 v23, v24, v23
	v_div_scale_f32 v24, vcc_lo, v16, 0x459c4000, v16
	v_mul_f32_e32 v25, v24, v23
	s_delay_alu instid0(VALU_DEP_1) | instskip(NEXT) | instid1(VALU_DEP_1)
	v_fma_f32 v26, -v22, v25, v24
	v_fmac_f32_e32 v25, v26, v23
	s_delay_alu instid0(VALU_DEP_1) | instskip(NEXT) | instid1(VALU_DEP_1)
	v_fma_f32 v22, -v22, v25, v24
	v_div_fmas_f32 v22, v22, v23, v25
	s_delay_alu instid0(VALU_DEP_1)
	v_div_fixup_f32 v16, v22, 0x459c4000, v16
.LBB27_1031:
	s_or_b32 exec_lo, exec_lo, s26
	v_add_nc_u32_e32 v22, 0xf00, v50
	s_delay_alu instid0(VALU_DEP_1)
	v_cmp_lt_u32_e64 s14, v22, v29
	s_and_saveexec_b32 s41, s14
	s_cbranch_execz .LBB27_1051
; %bb.1032:
	v_dual_add_nc_u32 v15, v30, v22 :: v_dual_mov_b32 v23, 1
	s_mov_b32 s17, 0
	s_mov_b32 s15, exec_lo
	s_delay_alu instid0(VALU_DEP_1) | instskip(NEXT) | instid1(VALU_DEP_1)
	v_mul_lo_u32 v22, 0x1388, v15
	v_cmpx_ne_u32_e32 0, v22
	s_cbranch_execz .LBB27_1048
; %bb.1033:
	v_mov_b32_e32 v23, 0
	v_mov_b64_e32 v[26:27], 1
	s_mov_b64 s[26:27], 0xbc8f
	s_mov_b64 s[20:21], 0xfffffffd
	;; [unrolled: 1-line block ×3, first 2 shown]
	v_mov_b64_e32 v[24:25], v[22:23]
	s_mov_b64 s[24:25], 0x80000001
	s_mov_b32 s42, 0
	s_branch .LBB27_1035
.LBB27_1034:                            ;   in Loop: Header=BB27_1035 Depth=1
	s_or_b32 exec_lo, exec_lo, s16
	s_mul_u64 s[26:27], s[26:27], s[26:27]
	s_mov_b32 s45, s17
	s_and_b64 s[46:47], s[26:27], s[20:21]
	s_mov_b32 s16, s27
	s_mul_u64 s[56:57], s[46:47], 3
	s_mul_u64 s[58:59], s[16:17], 3
	s_mov_b32 s44, s57
	s_mul_u64 s[46:47], s[46:47], s[24:25]
	s_add_nc_u64 s[44:45], s[58:59], s[44:45]
	v_lshrrev_b64 v[30:31], 1, v[24:25]
	s_and_b64 s[58:59], s[44:45], s[22:23]
	s_mov_b32 s57, s17
	s_add_nc_u64 s[46:47], s[46:47], s[58:59]
	s_mov_b32 s61, s17
	s_mov_b32 s56, s45
	;; [unrolled: 1-line block ×3, first 2 shown]
	s_mul_u64 s[46:47], s[16:17], s[24:25]
	s_add_nc_u64 s[44:45], s[56:57], s[60:61]
	v_cmp_gt_u64_e32 vcc_lo, 2, v[24:25]
	s_add_nc_u64 s[44:45], s[46:47], s[44:45]
	v_mov_b64_e32 v[24:25], v[30:31]
	s_lshr_b64 s[44:45], s[44:45], 30
	s_delay_alu instid0(SALU_CYCLE_1)
	s_mul_u64 s[44:45], s[44:45], 0x7fffffff
	s_or_b32 s42, vcc_lo, s42
	s_sub_nc_u64 s[26:27], s[26:27], s[44:45]
	s_and_not1_b32 exec_lo, exec_lo, s42
	s_cbranch_execz .LBB27_1047
.LBB27_1035:                            ; =>This Inner Loop Header: Depth=1
	s_delay_alu instid0(VALU_DEP_1) | instskip(SKIP_1) | instid1(VALU_DEP_1)
	v_and_b32_e32 v15, 1, v24
	s_mov_b32 s16, exec_lo
	v_cmpx_eq_u32_e32 1, v15
	s_cbranch_execz .LBB27_1034
; %bb.1036:                             ;   in Loop: Header=BB27_1035 Depth=1
	v_mul_u64_e32 v[26:27], s[26:27], v[26:27]
	s_delay_alu instid0(VALU_DEP_1) | instskip(NEXT) | instid1(VALU_DEP_1)
	v_mov_b32_e32 v22, v26
	v_mul_u64_e32 v[30:31], 5, v[22:23]
	s_delay_alu instid0(VALU_DEP_1) | instskip(NEXT) | instid1(VALU_DEP_1)
	v_mov_b32_e32 v22, v31
	v_mad_nc_u64_u32 v[30:31], v27, 5, v[22:23]
	s_delay_alu instid0(VALU_DEP_1) | instskip(NEXT) | instid1(VALU_DEP_1)
	v_dual_mov_b32 v22, v31 :: v_dual_mov_b32 v31, v23
	v_mad_nc_u64_u32 v[30:31], v26, 2, v[30:31]
	s_delay_alu instid0(VALU_DEP_1) | instskip(NEXT) | instid1(VALU_DEP_1)
	v_dual_mov_b32 v30, v31 :: v_dual_mov_b32 v31, v23
	v_add_nc_u64_e32 v[30:31], v[22:23], v[30:31]
	s_delay_alu instid0(VALU_DEP_1) | instskip(NEXT) | instid1(VALU_DEP_1)
	v_mad_nc_u64_u32 v[30:31], v27, 2, v[30:31]
	v_sub_nc_u64_e32 v[32:33], v[26:27], v[30:31]
	s_delay_alu instid0(VALU_DEP_1) | instskip(NEXT) | instid1(VALU_DEP_1)
	v_lshrrev_b64 v[32:33], 1, v[32:33]
	v_add_nc_u64_e32 v[30:31], v[32:33], v[30:31]
	s_delay_alu instid0(VALU_DEP_1) | instskip(NEXT) | instid1(VALU_DEP_1)
	v_lshrrev_b64 v[30:31], 30, v[30:31]
	v_mul_u64_e32 v[30:31], 0x7fffffff, v[30:31]
	s_delay_alu instid0(VALU_DEP_1)
	v_sub_nc_u64_e32 v[26:27], v[26:27], v[30:31]
	s_branch .LBB27_1034
.LBB27_1037:
	s_or_b32 exec_lo, exec_lo, s26
	v_add_min_u32_e64 v14, 0x80000001, v48, v48
	s_delay_alu instid0(VALU_DEP_1)
	v_add_min_u32_e64 v37, 0x80000001, v14, v14
.LBB27_1038:
	s_or_b32 exec_lo, exec_lo, s25
	v_mov_b32_e32 v14, 0
	s_movk_i32 s17, 0x1388
	s_brev_b32 s16, 12
.LBB27_1039:                            ; =>This Inner Loop Header: Depth=1
	v_mul_hi_u32 v36, 0xbc8f1391, v37
	s_delay_alu instid0(VALU_DEP_1) | instskip(NEXT) | instid1(VALU_DEP_1)
	v_dual_add_f32 v54, 1.0, v14 :: v_dual_lshrrev_b32 v36, 15, v36
	v_mul_u32_u24_e32 v38, 0xadc8, v36
	s_delay_alu instid0(VALU_DEP_1) | instskip(SKIP_1) | instid1(VALU_DEP_2)
	v_sub_nc_u32_e32 v37, v37, v38
	v_mul_u32_u24_e32 v36, 0xd47, v36
	v_mul_lo_u32 v37, 0xbc8f, v37
	s_delay_alu instid0(VALU_DEP_2) | instskip(SKIP_1) | instid1(VALU_DEP_3)
	v_xor_b32_e32 v38, 0x7fffffff, v36
	v_sub_nc_u32_e32 v39, 0, v36
	v_cmp_lt_u32_e32 vcc_lo, v37, v36
	s_delay_alu instid0(VALU_DEP_2) | instskip(NEXT) | instid1(VALU_DEP_1)
	v_cndmask_b32_e32 v36, v39, v38, vcc_lo
	v_add_nc_u32_e32 v36, v36, v37
	s_delay_alu instid0(VALU_DEP_1) | instskip(NEXT) | instid1(VALU_DEP_1)
	v_mul_hi_u32 v37, 0xbc8f1391, v36
	v_lshrrev_b32_e32 v37, 15, v37
	s_delay_alu instid0(VALU_DEP_1) | instskip(SKIP_1) | instid1(VALU_DEP_1)
	v_mul_u32_u24_e32 v38, 0xadc8, v37
	v_mul_u32_u24_e32 v37, 0xd47, v37
	v_dual_sub_nc_u32 v38, v36, v38 :: v_dual_sub_nc_u32 v48, 0, v37
	v_xor_b32_e32 v39, 0x7fffffff, v37
	v_add_nc_u32_e32 v36, -1, v36
	s_delay_alu instid0(VALU_DEP_3) | instskip(NEXT) | instid1(VALU_DEP_1)
	v_mul_lo_u32 v38, 0xbc8f, v38
	v_cmp_lt_u32_e32 vcc_lo, v38, v37
	s_delay_alu instid0(VALU_DEP_4) | instskip(NEXT) | instid1(VALU_DEP_1)
	v_cndmask_b32_e32 v37, v48, v39, vcc_lo
	v_add_nc_u32_e32 v37, v37, v38
	s_delay_alu instid0(VALU_DEP_1) | instskip(NEXT) | instid1(VALU_DEP_1)
	v_mul_hi_u32 v38, 0xbc8f1391, v37
	v_lshrrev_b32_e32 v38, 15, v38
	s_delay_alu instid0(VALU_DEP_1) | instskip(SKIP_1) | instid1(VALU_DEP_1)
	v_mul_u32_u24_e32 v39, 0xadc8, v38
	v_mul_u32_u24_e32 v38, 0xd47, v38
	v_dual_sub_nc_u32 v49, 0, v38 :: v_dual_sub_nc_u32 v39, v37, v39
	v_xor_b32_e32 v48, 0x7fffffff, v38
	v_add_nc_u32_e32 v37, -1, v37
	s_delay_alu instid0(VALU_DEP_3) | instskip(NEXT) | instid1(VALU_DEP_1)
	v_mul_lo_u32 v39, 0xbc8f, v39
	v_cmp_lt_u32_e32 vcc_lo, v39, v38
	s_delay_alu instid0(VALU_DEP_4) | instskip(NEXT) | instid1(VALU_DEP_1)
	v_cndmask_b32_e32 v38, v49, v48, vcc_lo
	v_add_nc_u32_e32 v48, v38, v39
	s_delay_alu instid0(VALU_DEP_1) | instskip(NEXT) | instid1(VALU_DEP_1)
	v_mul_hi_u32 v38, 0xbc8f1391, v48
	v_lshrrev_b32_e32 v38, 15, v38
	s_delay_alu instid0(VALU_DEP_1) | instskip(NEXT) | instid1(VALU_DEP_1)
	v_mul_u32_u24_e32 v39, 0xadc8, v38
	v_sub_nc_u32_e32 v39, v48, v39
	s_delay_alu instid0(VALU_DEP_1) | instskip(SKIP_2) | instid1(VALU_DEP_2)
	v_mul_lo_u32 v49, 0xbc8f, v39
	v_mul_u32_u24_e32 v39, 0xd47, v38
	v_cvt_f32_u32_e32 v38, v36
	v_xor_b32_e32 v36, 0x7fffffff, v39
	v_sub_nc_u32_e32 v55, 0, v39
	v_cmp_lt_u32_e32 vcc_lo, v49, v39
	v_cvt_f32_u32_e32 v39, v37
	s_delay_alu instid0(VALU_DEP_3) | instskip(NEXT) | instid1(VALU_DEP_2)
	v_cndmask_b32_e32 v36, v55, v36, vcc_lo
	v_pk_fma_f32 v[38:39], v[38:39], s[16:17], 0 op_sel_hi:[1,0,0]
	s_delay_alu instid0(VALU_DEP_2) | instskip(NEXT) | instid1(VALU_DEP_2)
	v_dual_add_nc_u32 v37, v36, v49 :: v_dual_add_nc_u32 v36, -1, v48
	v_pk_mul_f32 v[38:39], v[38:39], v[38:39]
	s_delay_alu instid0(VALU_DEP_2) | instskip(NEXT) | instid1(VALU_DEP_3)
	v_add_nc_u32_e32 v49, -1, v37
	v_cvt_f32_u32_e32 v48, v36
	s_delay_alu instid0(VALU_DEP_3) | instskip(NEXT) | instid1(VALU_DEP_3)
	v_add_f32_e32 v36, v38, v39
	v_cvt_f32_u32_e32 v49, v49
	s_delay_alu instid0(VALU_DEP_2) | instskip(NEXT) | instid1(VALU_DEP_2)
	v_cmp_gt_f32_e32 vcc_lo, 0xf800000, v36
	v_pk_fma_f32 v[38:39], v[48:49], s[16:17], 0 op_sel_hi:[1,0,0]
	v_mul_f32_e32 v48, 0x4f800000, v36
	s_add_co_i32 s17, s17, -2
	s_delay_alu instid0(SALU_CYCLE_1) | instskip(NEXT) | instid1(VALU_DEP_2)
	s_cmp_lg_u32 s17, 0
	v_pk_mul_f32 v[38:39], v[38:39], v[38:39]
	s_delay_alu instid0(VALU_DEP_1) | instskip(NEXT) | instid1(VALU_DEP_1)
	v_add_f32_e32 v38, v38, v39
	v_cmp_gt_f32_e64 s14, 0xf800000, v38
	v_cndmask_b32_e32 v36, v36, v48, vcc_lo
	v_mul_f32_e32 v48, 0x4f800000, v38
	s_delay_alu instid0(VALU_DEP_1) | instskip(NEXT) | instid1(VALU_DEP_3)
	v_cndmask_b32_e64 v38, v38, v48, s14
	v_sqrt_f32_e32 v39, v36
	s_delay_alu instid0(VALU_DEP_1) | instskip(NEXT) | instid1(TRANS32_DEP_2)
	v_sqrt_f32_e32 v64, v38
	v_dual_add_nc_u32 v49, -1, v39 :: v_dual_add_nc_u32 v48, 1, v39
	s_delay_alu instid0(VALU_DEP_1) | instskip(NEXT) | instid1(VALU_DEP_1)
	v_fma_f32 v55, -v49, v39, v36
	v_cmp_ge_f32_e64 s15, 0, v55
	s_delay_alu instid0(VALU_DEP_1) | instskip(NEXT) | instid1(VALU_DEP_1)
	v_dual_fma_f32 v65, -v48, v39, v36 :: v_dual_cndmask_b32 v39, v39, v49, s15
	v_cmp_lt_f32_e64 s15, 0, v65
	s_delay_alu instid0(TRANS32_DEP_1) | instskip(NEXT) | instid1(VALU_DEP_2)
	v_add_nc_u32_e32 v49, -1, v64
	v_cndmask_b32_e64 v39, v39, v48, s15
	s_delay_alu instid0(VALU_DEP_2) | instskip(NEXT) | instid1(VALU_DEP_1)
	v_dual_add_nc_u32 v48, 1, v64 :: v_dual_fma_f32 v55, -v49, v64, v38
	v_cmp_ge_f32_e64 s15, 0, v55
	s_delay_alu instid0(VALU_DEP_1) | instskip(NEXT) | instid1(VALU_DEP_4)
	v_cndmask_b32_e64 v49, v64, v49, s15
	v_mul_f32_e32 v65, 0x37800000, v39
	s_delay_alu instid0(VALU_DEP_1) | instskip(SKIP_1) | instid1(VALU_DEP_2)
	v_cndmask_b32_e32 v39, v39, v65, vcc_lo
	v_cmp_class_f32_e64 vcc_lo, v36, 0x260
	v_cndmask_b32_e32 v36, v39, v36, vcc_lo
	s_delay_alu instid0(VALU_DEP_1) | instskip(NEXT) | instid1(VALU_DEP_3)
	v_cmp_nge_f32_e32 vcc_lo, 1.0, v36
	v_dual_fma_f32 v66, -v48, v64, v38 :: v_dual_cndmask_b32 v14, v54, v14, vcc_lo
	s_delay_alu instid0(VALU_DEP_1) | instskip(SKIP_1) | instid1(VALU_DEP_2)
	v_cmp_lt_f32_e64 s15, 0, v66
	v_cmp_class_f32_e64 vcc_lo, v38, 0x260
	v_cndmask_b32_e64 v48, v49, v48, s15
	s_delay_alu instid0(VALU_DEP_1) | instskip(NEXT) | instid1(VALU_DEP_1)
	v_mul_f32_e32 v39, 0x37800000, v48
	v_dual_cndmask_b32 v36, v48, v39, s14 :: v_dual_add_f32 v39, 1.0, v14
	s_delay_alu instid0(VALU_DEP_1) | instskip(NEXT) | instid1(VALU_DEP_1)
	v_cndmask_b32_e32 v36, v36, v38, vcc_lo
	v_cmp_nge_f32_e32 vcc_lo, 1.0, v36
	s_delay_alu instid0(VALU_DEP_3)
	v_cndmask_b32_e32 v14, v39, v14, vcc_lo
	s_cbranch_scc1 .LBB27_1039
; %bb.1040:
	s_delay_alu instid0(VALU_DEP_1) | instskip(NEXT) | instid1(VALU_DEP_1)
	v_mul_f32_e32 v14, 4.0, v14
	v_div_scale_f32 v36, null, 0x459c4000, 0x459c4000, v14
	s_delay_alu instid0(VALU_DEP_1) | instskip(SKIP_1) | instid1(TRANS32_DEP_1)
	v_rcp_f32_e32 v37, v36
	v_nop
	v_fma_f32 v38, -v36, v37, 1.0
	s_delay_alu instid0(VALU_DEP_1) | instskip(SKIP_1) | instid1(VALU_DEP_1)
	v_fmac_f32_e32 v37, v38, v37
	v_div_scale_f32 v38, vcc_lo, v14, 0x459c4000, v14
	v_mul_f32_e32 v39, v38, v37
	s_delay_alu instid0(VALU_DEP_1) | instskip(NEXT) | instid1(VALU_DEP_1)
	v_fma_f32 v48, -v36, v39, v38
	v_fmac_f32_e32 v39, v48, v37
	s_delay_alu instid0(VALU_DEP_1) | instskip(NEXT) | instid1(VALU_DEP_1)
	v_fma_f32 v36, -v36, v39, v38
	v_div_fmas_f32 v36, v36, v37, v39
	s_delay_alu instid0(VALU_DEP_1)
	v_div_fixup_f32 v14, v36, 0x459c4000, v14
.LBB27_1041:
	s_or_b32 exec_lo, exec_lo, s24
	v_add_nc_u32_e32 v36, 0xf00, v50
	s_delay_alu instid0(VALU_DEP_1)
	v_cmp_lt_u32_e64 s14, v36, v52
	s_and_saveexec_b32 s26, s14
	s_cbranch_execz .LBB27_1060
; %bb.1042:
	v_dual_add_nc_u32 v15, v53, v36 :: v_dual_mov_b32 v37, 1
	s_mov_b32 s17, 0
	s_mov_b32 s15, exec_lo
	s_delay_alu instid0(VALU_DEP_1) | instskip(NEXT) | instid1(VALU_DEP_1)
	v_mul_lo_u32 v36, 0x1388, v15
	v_cmpx_ne_u32_e32 0, v36
	s_cbranch_execz .LBB27_1057
; %bb.1043:
	v_mov_b32_e32 v37, 0
	v_mov_b64_e32 v[48:49], 1
	s_mov_b64 s[24:25], 0xbc8f
	s_mov_b64 s[18:19], 0xfffffffd
	;; [unrolled: 1-line block ×3, first 2 shown]
	v_mov_b64_e32 v[38:39], v[36:37]
	s_mov_b64 s[22:23], 0x80000001
	s_mov_b32 s27, 0
	s_branch .LBB27_1045
.LBB27_1044:                            ;   in Loop: Header=BB27_1045 Depth=1
	s_or_b32 exec_lo, exec_lo, s16
	s_mul_u64 s[24:25], s[24:25], s[24:25]
	s_mov_b32 s29, s17
	s_and_b64 s[40:41], s[24:25], s[18:19]
	s_mov_b32 s16, s25
	s_mul_u64 s[42:43], s[40:41], 3
	s_mul_u64 s[46:47], s[16:17], 3
	s_mov_b32 s28, s43
	s_mul_u64 s[40:41], s[40:41], s[22:23]
	s_add_nc_u64 s[28:29], s[46:47], s[28:29]
	v_lshrrev_b64 v[54:55], 1, v[38:39]
	s_and_b64 s[46:47], s[28:29], s[20:21]
	s_mov_b32 s43, s17
	s_add_nc_u64 s[40:41], s[40:41], s[46:47]
	s_mov_b32 s57, s17
	s_mov_b32 s42, s29
	;; [unrolled: 1-line block ×3, first 2 shown]
	s_mul_u64 s[40:41], s[16:17], s[22:23]
	s_add_nc_u64 s[28:29], s[42:43], s[56:57]
	v_cmp_gt_u64_e32 vcc_lo, 2, v[38:39]
	s_add_nc_u64 s[28:29], s[40:41], s[28:29]
	v_mov_b64_e32 v[38:39], v[54:55]
	s_lshr_b64 s[28:29], s[28:29], 30
	s_delay_alu instid0(SALU_CYCLE_1)
	s_mul_u64 s[28:29], s[28:29], 0x7fffffff
	s_or_b32 s27, vcc_lo, s27
	s_sub_nc_u64 s[24:25], s[24:25], s[28:29]
	s_and_not1_b32 exec_lo, exec_lo, s27
	s_cbranch_execz .LBB27_1056
.LBB27_1045:                            ; =>This Inner Loop Header: Depth=1
	s_delay_alu instid0(VALU_DEP_1) | instskip(SKIP_1) | instid1(VALU_DEP_1)
	v_and_b32_e32 v15, 1, v38
	s_mov_b32 s16, exec_lo
	v_cmpx_eq_u32_e32 1, v15
	s_cbranch_execz .LBB27_1044
; %bb.1046:                             ;   in Loop: Header=BB27_1045 Depth=1
	v_mul_u64_e32 v[48:49], s[24:25], v[48:49]
	s_delay_alu instid0(VALU_DEP_1) | instskip(NEXT) | instid1(VALU_DEP_1)
	v_mov_b32_e32 v36, v48
	v_mul_u64_e32 v[54:55], 5, v[36:37]
	s_delay_alu instid0(VALU_DEP_1) | instskip(NEXT) | instid1(VALU_DEP_1)
	v_mov_b32_e32 v36, v55
	v_mad_nc_u64_u32 v[54:55], v49, 5, v[36:37]
	s_delay_alu instid0(VALU_DEP_1) | instskip(NEXT) | instid1(VALU_DEP_1)
	v_dual_mov_b32 v36, v55 :: v_dual_mov_b32 v55, v37
	v_mad_nc_u64_u32 v[54:55], v48, 2, v[54:55]
	s_delay_alu instid0(VALU_DEP_1) | instskip(NEXT) | instid1(VALU_DEP_1)
	v_dual_mov_b32 v54, v55 :: v_dual_mov_b32 v55, v37
	v_add_nc_u64_e32 v[54:55], v[36:37], v[54:55]
	s_delay_alu instid0(VALU_DEP_1) | instskip(NEXT) | instid1(VALU_DEP_1)
	v_mad_nc_u64_u32 v[54:55], v49, 2, v[54:55]
	v_sub_nc_u64_e32 v[64:65], v[48:49], v[54:55]
	s_delay_alu instid0(VALU_DEP_1) | instskip(NEXT) | instid1(VALU_DEP_1)
	v_lshrrev_b64 v[64:65], 1, v[64:65]
	v_add_nc_u64_e32 v[54:55], v[64:65], v[54:55]
	s_delay_alu instid0(VALU_DEP_1) | instskip(NEXT) | instid1(VALU_DEP_1)
	v_lshrrev_b64 v[54:55], 30, v[54:55]
	v_mul_u64_e32 v[54:55], 0x7fffffff, v[54:55]
	s_delay_alu instid0(VALU_DEP_1)
	v_sub_nc_u64_e32 v[48:49], v[48:49], v[54:55]
	s_branch .LBB27_1044
.LBB27_1047:
	s_or_b32 exec_lo, exec_lo, s42
	v_add_min_u32_e64 v15, 0x80000001, v26, v26
	s_delay_alu instid0(VALU_DEP_1)
	v_add_min_u32_e64 v23, 0x80000001, v15, v15
.LBB27_1048:
	s_or_b32 exec_lo, exec_lo, s15
	v_mov_b32_e32 v15, 0
	s_movk_i32 s17, 0x1388
	s_brev_b32 s20, 12
.LBB27_1049:                            ; =>This Inner Loop Header: Depth=1
	v_mul_hi_u32 v22, 0xbc8f1391, v23
	s_add_co_i32 s17, s17, -2
	s_delay_alu instid0(VALU_DEP_2) | instskip(SKIP_1) | instid1(VALU_DEP_2)
	v_add_f32_e32 v30, 1.0, v15
	s_cmp_lg_u32 s17, 0
	v_lshrrev_b32_e32 v22, 15, v22
	s_delay_alu instid0(VALU_DEP_1) | instskip(NEXT) | instid1(VALU_DEP_1)
	v_mul_u32_u24_e32 v24, 0xadc8, v22
	v_sub_nc_u32_e32 v23, v23, v24
	v_mul_u32_u24_e32 v22, 0xd47, v22
	s_delay_alu instid0(VALU_DEP_2) | instskip(NEXT) | instid1(VALU_DEP_2)
	v_mul_lo_u32 v23, 0xbc8f, v23
	v_xor_b32_e32 v24, 0x7fffffff, v22
	v_sub_nc_u32_e32 v25, 0, v22
	s_delay_alu instid0(VALU_DEP_3) | instskip(NEXT) | instid1(VALU_DEP_2)
	v_cmp_lt_u32_e32 vcc_lo, v23, v22
	v_cndmask_b32_e32 v22, v25, v24, vcc_lo
	s_delay_alu instid0(VALU_DEP_1) | instskip(NEXT) | instid1(VALU_DEP_1)
	v_add_nc_u32_e32 v22, v22, v23
	v_mul_hi_u32 v23, 0xbc8f1391, v22
	s_delay_alu instid0(VALU_DEP_1) | instskip(NEXT) | instid1(VALU_DEP_1)
	v_lshrrev_b32_e32 v23, 15, v23
	v_mul_u32_u24_e32 v24, 0xadc8, v23
	v_mul_u32_u24_e32 v23, 0xd47, v23
	s_delay_alu instid0(VALU_DEP_1) | instskip(SKIP_2) | instid1(VALU_DEP_3)
	v_dual_sub_nc_u32 v24, v22, v24 :: v_dual_sub_nc_u32 v26, 0, v23
	v_xor_b32_e32 v25, 0x7fffffff, v23
	v_add_nc_u32_e32 v22, -1, v22
	v_mul_lo_u32 v24, 0xbc8f, v24
	s_delay_alu instid0(VALU_DEP_1) | instskip(NEXT) | instid1(VALU_DEP_4)
	v_cmp_lt_u32_e32 vcc_lo, v24, v23
	v_cndmask_b32_e32 v23, v26, v25, vcc_lo
	s_delay_alu instid0(VALU_DEP_1) | instskip(NEXT) | instid1(VALU_DEP_1)
	v_add_nc_u32_e32 v23, v23, v24
	v_mul_hi_u32 v24, 0xbc8f1391, v23
	s_delay_alu instid0(VALU_DEP_1) | instskip(NEXT) | instid1(VALU_DEP_1)
	v_lshrrev_b32_e32 v24, 15, v24
	v_mul_u32_u24_e32 v25, 0xadc8, v24
	v_mul_u32_u24_e32 v24, 0xd47, v24
	s_delay_alu instid0(VALU_DEP_1) | instskip(SKIP_2) | instid1(VALU_DEP_3)
	v_dual_sub_nc_u32 v27, 0, v24 :: v_dual_sub_nc_u32 v25, v23, v25
	v_xor_b32_e32 v26, 0x7fffffff, v24
	v_add_nc_u32_e32 v23, -1, v23
	v_mul_lo_u32 v25, 0xbc8f, v25
	s_delay_alu instid0(VALU_DEP_1) | instskip(NEXT) | instid1(VALU_DEP_4)
	v_cmp_lt_u32_e32 vcc_lo, v25, v24
	v_cndmask_b32_e32 v24, v27, v26, vcc_lo
	s_delay_alu instid0(VALU_DEP_1) | instskip(NEXT) | instid1(VALU_DEP_1)
	v_add_nc_u32_e32 v26, v24, v25
	v_mul_hi_u32 v24, 0xbc8f1391, v26
	s_delay_alu instid0(VALU_DEP_1) | instskip(NEXT) | instid1(VALU_DEP_1)
	v_lshrrev_b32_e32 v24, 15, v24
	v_mul_u32_u24_e32 v25, 0xadc8, v24
	s_delay_alu instid0(VALU_DEP_1) | instskip(NEXT) | instid1(VALU_DEP_1)
	v_sub_nc_u32_e32 v25, v26, v25
	v_mul_lo_u32 v27, 0xbc8f, v25
	v_mul_u32_u24_e32 v25, 0xd47, v24
	v_cvt_f32_u32_e32 v24, v22
	s_delay_alu instid0(VALU_DEP_2) | instskip(SKIP_3) | instid1(VALU_DEP_3)
	v_xor_b32_e32 v22, 0x7fffffff, v25
	v_sub_nc_u32_e32 v31, 0, v25
	v_cmp_lt_u32_e32 vcc_lo, v27, v25
	v_cvt_f32_u32_e32 v25, v23
	v_cndmask_b32_e32 v22, v31, v22, vcc_lo
	s_delay_alu instid0(VALU_DEP_2) | instskip(NEXT) | instid1(VALU_DEP_2)
	v_pk_fma_f32 v[24:25], v[24:25], s[20:21], 0 op_sel_hi:[1,0,0]
	v_dual_add_nc_u32 v23, v22, v27 :: v_dual_add_nc_u32 v22, -1, v26
	s_delay_alu instid0(VALU_DEP_2) | instskip(NEXT) | instid1(VALU_DEP_2)
	v_pk_mul_f32 v[24:25], v[24:25], v[24:25]
	v_add_nc_u32_e32 v27, -1, v23
	s_delay_alu instid0(VALU_DEP_3) | instskip(NEXT) | instid1(VALU_DEP_3)
	v_cvt_f32_u32_e32 v26, v22
	v_add_f32_e32 v22, v24, v25
	s_delay_alu instid0(VALU_DEP_3) | instskip(NEXT) | instid1(VALU_DEP_2)
	v_cvt_f32_u32_e32 v27, v27
	v_cmp_gt_f32_e32 vcc_lo, 0xf800000, v22
	s_delay_alu instid0(VALU_DEP_2) | instskip(SKIP_1) | instid1(VALU_DEP_2)
	v_pk_fma_f32 v[24:25], v[26:27], s[20:21], 0 op_sel_hi:[1,0,0]
	v_mul_f32_e32 v26, 0x4f800000, v22
	v_pk_mul_f32 v[24:25], v[24:25], v[24:25]
	s_delay_alu instid0(VALU_DEP_1) | instskip(NEXT) | instid1(VALU_DEP_1)
	v_add_f32_e32 v24, v24, v25
	v_cmp_gt_f32_e64 s15, 0xf800000, v24
	s_delay_alu instid0(VALU_DEP_4) | instskip(SKIP_1) | instid1(VALU_DEP_1)
	v_cndmask_b32_e32 v22, v22, v26, vcc_lo
	v_mul_f32_e32 v26, 0x4f800000, v24
	v_cndmask_b32_e64 v24, v24, v26, s15
	s_delay_alu instid0(VALU_DEP_3) | instskip(NEXT) | instid1(VALU_DEP_1)
	v_sqrt_f32_e32 v25, v22
	v_sqrt_f32_e32 v32, v24
	s_delay_alu instid0(TRANS32_DEP_2) | instskip(NEXT) | instid1(VALU_DEP_1)
	v_dual_add_nc_u32 v27, -1, v25 :: v_dual_add_nc_u32 v26, 1, v25
	v_fma_f32 v31, -v27, v25, v22
	s_delay_alu instid0(VALU_DEP_1) | instskip(NEXT) | instid1(VALU_DEP_1)
	v_cmp_ge_f32_e64 s16, 0, v31
	v_dual_fma_f32 v33, -v26, v25, v22 :: v_dual_cndmask_b32 v25, v25, v27, s16
	s_delay_alu instid0(VALU_DEP_1)
	v_cmp_lt_f32_e64 s16, 0, v33
	s_delay_alu instid0(TRANS32_DEP_1) | instid1(VALU_DEP_1)
	v_dual_add_nc_u32 v27, -1, v32 :: v_dual_cndmask_b32 v25, v25, v26, s16
	s_delay_alu instid0(VALU_DEP_1) | instskip(NEXT) | instid1(VALU_DEP_2)
	v_dual_add_nc_u32 v26, 1, v32 :: v_dual_fma_f32 v31, -v27, v32, v24
	v_mul_f32_e32 v33, 0x37800000, v25
	s_delay_alu instid0(VALU_DEP_2) | instskip(NEXT) | instid1(VALU_DEP_3)
	v_fma_f32 v34, -v26, v32, v24
	v_cmp_ge_f32_e64 s16, 0, v31
	s_delay_alu instid0(VALU_DEP_3) | instskip(SKIP_1) | instid1(VALU_DEP_3)
	v_cndmask_b32_e32 v25, v25, v33, vcc_lo
	v_cmp_class_f32_e64 vcc_lo, v22, 0x260
	v_cndmask_b32_e64 v27, v32, v27, s16
	v_cmp_lt_f32_e64 s16, 0, v34
	s_delay_alu instid0(VALU_DEP_4) | instskip(NEXT) | instid1(VALU_DEP_1)
	v_cndmask_b32_e32 v22, v25, v22, vcc_lo
	v_cmp_nge_f32_e32 vcc_lo, 1.0, v22
	s_delay_alu instid0(VALU_DEP_3) | instskip(SKIP_1) | instid1(VALU_DEP_2)
	v_dual_cndmask_b32 v26, v27, v26, s16 :: v_dual_cndmask_b32 v15, v30, v15, vcc_lo
	v_cmp_class_f32_e64 vcc_lo, v24, 0x260
	v_mul_f32_e32 v25, 0x37800000, v26
	s_delay_alu instid0(VALU_DEP_1) | instskip(NEXT) | instid1(VALU_DEP_1)
	v_dual_cndmask_b32 v22, v26, v25, s15 :: v_dual_add_f32 v25, 1.0, v15
	v_cndmask_b32_e32 v22, v22, v24, vcc_lo
	s_delay_alu instid0(VALU_DEP_1) | instskip(NEXT) | instid1(VALU_DEP_3)
	v_cmp_nge_f32_e32 vcc_lo, 1.0, v22
	v_cndmask_b32_e32 v15, v25, v15, vcc_lo
	s_cbranch_scc1 .LBB27_1049
; %bb.1050:
	s_delay_alu instid0(VALU_DEP_1) | instskip(NEXT) | instid1(VALU_DEP_1)
	v_mul_f32_e32 v15, 4.0, v15
	v_div_scale_f32 v22, null, 0x459c4000, 0x459c4000, v15
	s_delay_alu instid0(VALU_DEP_1) | instskip(SKIP_1) | instid1(TRANS32_DEP_1)
	v_rcp_f32_e32 v23, v22
	v_nop
	v_fma_f32 v24, -v22, v23, 1.0
	s_delay_alu instid0(VALU_DEP_1) | instskip(SKIP_1) | instid1(VALU_DEP_1)
	v_fmac_f32_e32 v23, v24, v23
	v_div_scale_f32 v24, vcc_lo, v15, 0x459c4000, v15
	v_mul_f32_e32 v25, v24, v23
	s_delay_alu instid0(VALU_DEP_1) | instskip(NEXT) | instid1(VALU_DEP_1)
	v_fma_f32 v26, -v22, v25, v24
	v_fmac_f32_e32 v25, v26, v23
	s_delay_alu instid0(VALU_DEP_1) | instskip(NEXT) | instid1(VALU_DEP_1)
	v_fma_f32 v22, -v22, v25, v24
	v_div_fmas_f32 v22, v22, v23, v25
	s_delay_alu instid0(VALU_DEP_1)
	v_div_fixup_f32 v15, v22, 0x459c4000, v15
.LBB27_1051:
	s_or_b32 exec_lo, exec_lo, s41
	v_add_f32_e32 v3, v2, v3
	s_delay_alu instid0(VALU_DEP_1) | instskip(NEXT) | instid1(VALU_DEP_1)
	v_cndmask_b32_e64 v2, v2, v3, s0
	v_add_f32_e32 v3, v4, v2
	s_delay_alu instid0(VALU_DEP_1) | instskip(NEXT) | instid1(VALU_DEP_1)
	v_cndmask_b32_e64 v2, v2, v3, s1
	;; [unrolled: 3-line block ×3, first 2 shown]
	v_add_f32_e32 v3, v6, v2
	v_and_b32_e32 v6, 0x3e0, v50
	s_delay_alu instid0(VALU_DEP_2) | instskip(NEXT) | instid1(VALU_DEP_1)
	v_cndmask_b32_e64 v2, v2, v3, s3
	v_add_f32_e32 v3, v7, v2
	s_delay_alu instid0(VALU_DEP_1) | instskip(NEXT) | instid1(VALU_DEP_1)
	v_cndmask_b32_e64 v2, v2, v3, s4
	v_add_f32_e32 v3, v8, v2
	s_delay_alu instid0(VALU_DEP_1) | instskip(NEXT) | instid1(VALU_DEP_1)
	;; [unrolled: 3-line block ×8, first 2 shown]
	v_cndmask_b32_e64 v2, v2, v3, s11
	v_add_f32_e32 v3, v17, v2
	s_delay_alu instid0(VALU_DEP_1) | instskip(SKIP_1) | instid1(VALU_DEP_2)
	v_cndmask_b32_e64 v3, v2, v3, s12
	v_mbcnt_lo_u32_b32 v2, -1, 0
	v_add_f32_e32 v4, v16, v3
	s_delay_alu instid0(VALU_DEP_2) | instskip(SKIP_2) | instid1(VALU_DEP_4)
	v_cmp_ne_u32_e32 vcc_lo, 31, v2
	v_add_nc_u32_e32 v8, 1, v2
	v_cmp_gt_u32_e64 s0, 28, v2
	v_dual_add_nc_u32 v9, 2, v2 :: v_dual_cndmask_b32 v3, v3, v4, s13
	v_add_co_ci_u32_e64 v4, null, 0, v2, vcc_lo
	v_cmp_gt_u32_e32 vcc_lo, 30, v2
	s_delay_alu instid0(VALU_DEP_2) | instskip(SKIP_1) | instid1(VALU_DEP_2)
	v_dual_add_f32 v5, v15, v3 :: v_dual_lshlrev_b32 v4, 2, v4
	v_cndmask_b32_e64 v7, 0, 2, vcc_lo
	v_cndmask_b32_e64 v3, v3, v5, s14
	s_delay_alu instid0(VALU_DEP_2) | instskip(SKIP_2) | instid1(VALU_DEP_1)
	v_add_lshl_u32 v7, v7, v2, 2
	ds_bpermute_b32 v5, v4, v3
	v_min_u32_e32 v4, 0x100, v29
	v_sub_nc_u32_e64 v6, v4, v6 clamp
	s_delay_alu instid0(VALU_DEP_1) | instskip(SKIP_3) | instid1(VALU_DEP_3)
	v_cmp_lt_u32_e32 vcc_lo, v8, v6
	v_cndmask_b32_e64 v8, 0, 4, s0
	v_cmp_lt_u32_e64 s0, v9, v6
	v_add_nc_u32_e32 v9, 4, v2
	v_add_lshl_u32 v8, v8, v2, 2
	s_wait_dscnt 0x0
	v_add_f32_e32 v5, v3, v5
	s_delay_alu instid0(VALU_DEP_1) | instskip(SKIP_3) | instid1(VALU_DEP_1)
	v_cndmask_b32_e32 v5, v3, v5, vcc_lo
	ds_bpermute_b32 v7, v7, v5
	s_wait_dscnt 0x0
	v_add_f32_e32 v7, v5, v7
	v_cndmask_b32_e64 v5, v5, v7, s0
	v_cmp_gt_u32_e64 s0, 24, v2
	ds_bpermute_b32 v7, v8, v5
	v_cndmask_b32_e64 v8, 0, 8, s0
	v_cmp_lt_u32_e64 s0, v9, v6
	v_add_nc_u32_e32 v9, 8, v2
	s_delay_alu instid0(VALU_DEP_3) | instskip(SKIP_2) | instid1(VALU_DEP_1)
	v_add_lshl_u32 v8, v8, v2, 2
	s_wait_dscnt 0x0
	v_add_f32_e32 v7, v5, v7
	v_dual_cndmask_b32 v7, v5, v7, s0 :: v_dual_lshlrev_b32 v5, 2, v2
	v_cmp_lt_u32_e64 s0, v9, v6
	v_add_nc_u32_e32 v9, 16, v2
	ds_bpermute_b32 v8, v8, v7
	s_wait_dscnt 0x0
	v_dual_add_f32 v8, v7, v8 :: v_dual_bitop2_b32 v10, 64, v5 bitop3:0x54
	s_delay_alu instid0(VALU_DEP_1) | instskip(SKIP_4) | instid1(VALU_DEP_1)
	v_cndmask_b32_e64 v7, v7, v8, s0
	v_cmp_lt_u32_e64 s0, v9, v6
	ds_bpermute_b32 v8, v10, v7
	s_wait_dscnt 0x0
	v_add_f32_e32 v8, v7, v8
	v_cndmask_b32_e64 v6, v7, v8, s0
	s_mov_b32 s0, exec_lo
	s_delay_alu instid0(VALU_DEP_1)
	v_cndmask_b32_e32 v3, v3, v6, vcc_lo
	v_cmpx_eq_u32_e32 0, v2
; %bb.1052:
	v_lshrrev_b32_e32 v6, 3, v50
	s_delay_alu instid0(VALU_DEP_1)
	v_and_b32_e32 v6, 0x7c, v6
	ds_store_b32 v6, v3 offset:192
; %bb.1053:
	s_or_b32 exec_lo, exec_lo, s0
	s_delay_alu instid0(SALU_CYCLE_1)
	s_mov_b32 s1, exec_lo
	s_wait_storecnt 0x0
	s_wait_loadcnt_dscnt 0x0
	s_barrier_signal -1
	s_barrier_wait -1
	v_cmpx_gt_u32_e32 8, v50
	s_cbranch_execz .LBB27_1055
; %bb.1054:
	ds_load_b32 v3, v5 offset:192
	v_and_b32_e32 v6, 7, v2
	v_or_b32_e32 v5, 16, v5
	s_delay_alu instid0(VALU_DEP_2) | instskip(SKIP_1) | instid1(VALU_DEP_1)
	v_cmp_ne_u32_e32 vcc_lo, 7, v6
	v_add_co_ci_u32_e64 v7, null, 0, v2, vcc_lo
	v_dual_lshlrev_b32 v7, 2, v7 :: v_dual_add_nc_u32 v4, 31, v4
	v_add_nc_u32_e32 v9, 1, v6
	v_cmp_gt_u32_e32 vcc_lo, 6, v6
	s_wait_dscnt 0x0
	ds_bpermute_b32 v7, v7, v3
	v_lshrrev_b32_e32 v4, 5, v4
	v_cndmask_b32_e64 v8, 0, 2, vcc_lo
	s_delay_alu instid0(VALU_DEP_1) | instskip(SKIP_3) | instid1(VALU_DEP_2)
	v_add_lshl_u32 v2, v8, v2, 2
	s_wait_dscnt 0x0
	v_dual_add_f32 v7, v3, v7 :: v_dual_add_nc_u32 v8, 2, v6
	v_cmp_lt_u32_e32 vcc_lo, v9, v4
	v_cmp_lt_u32_e64 s0, v8, v4
	s_delay_alu instid0(VALU_DEP_3) | instskip(SKIP_3) | instid1(VALU_DEP_1)
	v_cndmask_b32_e32 v7, v3, v7, vcc_lo
	ds_bpermute_b32 v2, v2, v7
	s_wait_dscnt 0x0
	v_add_f32_e32 v2, v7, v2
	v_cndmask_b32_e64 v2, v7, v2, s0
	ds_bpermute_b32 v5, v5, v2
	s_wait_dscnt 0x0
	v_dual_add_f32 v5, v2, v5 :: v_dual_add_nc_u32 v6, 4, v6
	s_delay_alu instid0(VALU_DEP_1) | instskip(NEXT) | instid1(VALU_DEP_1)
	v_cmp_lt_u32_e64 s0, v6, v4
	v_cndmask_b32_e64 v2, v2, v5, s0
	s_delay_alu instid0(VALU_DEP_1)
	v_cndmask_b32_e32 v3, v3, v2, vcc_lo
.LBB27_1055:
	s_or_b32 exec_lo, exec_lo, s1
	s_delay_alu instid0(SALU_CYCLE_1)
	s_or_b32 exec_lo, exec_lo, s40
	v_cmp_eq_u32_e32 vcc_lo, 0, v50
	s_and_b32 exec_lo, exec_lo, vcc_lo
	s_cbranch_execz .LBB27_1225
; %bb.1229:
	s_add_pc_i64 .LBB27_24-.Lpost_addpc2
.Lpost_addpc2:
.LBB27_1225:
	s_add_pc_i64 .LBB27_25-.Lpost_addpc0
.Lpost_addpc0:
.LBB27_1056:
	s_or_b32 exec_lo, exec_lo, s27
	v_add_min_u32_e64 v15, 0x80000001, v48, v48
	s_delay_alu instid0(VALU_DEP_1)
	v_add_min_u32_e64 v37, 0x80000001, v15, v15
.LBB27_1057:
	s_or_b32 exec_lo, exec_lo, s15
	v_mov_b32_e32 v15, 0
	s_movk_i32 s17, 0x1388
	s_brev_b32 s18, 12
.LBB27_1058:                            ; =>This Inner Loop Header: Depth=1
	v_mul_hi_u32 v36, 0xbc8f1391, v37
	s_add_co_i32 s17, s17, -2
	s_delay_alu instid0(VALU_DEP_2) | instskip(SKIP_1) | instid1(VALU_DEP_2)
	v_add_f32_e32 v54, 1.0, v15
	s_cmp_lg_u32 s17, 0
	v_lshrrev_b32_e32 v36, 15, v36
	s_delay_alu instid0(VALU_DEP_1) | instskip(NEXT) | instid1(VALU_DEP_1)
	v_mul_u32_u24_e32 v38, 0xadc8, v36
	v_sub_nc_u32_e32 v37, v37, v38
	v_mul_u32_u24_e32 v36, 0xd47, v36
	s_delay_alu instid0(VALU_DEP_2) | instskip(NEXT) | instid1(VALU_DEP_2)
	v_mul_lo_u32 v37, 0xbc8f, v37
	v_xor_b32_e32 v38, 0x7fffffff, v36
	v_sub_nc_u32_e32 v39, 0, v36
	s_delay_alu instid0(VALU_DEP_3) | instskip(NEXT) | instid1(VALU_DEP_2)
	v_cmp_lt_u32_e32 vcc_lo, v37, v36
	v_cndmask_b32_e32 v36, v39, v38, vcc_lo
	s_delay_alu instid0(VALU_DEP_1) | instskip(NEXT) | instid1(VALU_DEP_1)
	v_add_nc_u32_e32 v36, v36, v37
	v_mul_hi_u32 v37, 0xbc8f1391, v36
	s_delay_alu instid0(VALU_DEP_1) | instskip(NEXT) | instid1(VALU_DEP_1)
	v_lshrrev_b32_e32 v37, 15, v37
	v_mul_u32_u24_e32 v38, 0xadc8, v37
	v_mul_u32_u24_e32 v37, 0xd47, v37
	s_delay_alu instid0(VALU_DEP_1) | instskip(SKIP_2) | instid1(VALU_DEP_3)
	v_dual_sub_nc_u32 v38, v36, v38 :: v_dual_sub_nc_u32 v48, 0, v37
	v_xor_b32_e32 v39, 0x7fffffff, v37
	v_add_nc_u32_e32 v36, -1, v36
	v_mul_lo_u32 v38, 0xbc8f, v38
	s_delay_alu instid0(VALU_DEP_1) | instskip(NEXT) | instid1(VALU_DEP_4)
	v_cmp_lt_u32_e32 vcc_lo, v38, v37
	v_cndmask_b32_e32 v37, v48, v39, vcc_lo
	s_delay_alu instid0(VALU_DEP_1) | instskip(NEXT) | instid1(VALU_DEP_1)
	v_add_nc_u32_e32 v37, v37, v38
	v_mul_hi_u32 v38, 0xbc8f1391, v37
	s_delay_alu instid0(VALU_DEP_1) | instskip(NEXT) | instid1(VALU_DEP_1)
	v_lshrrev_b32_e32 v38, 15, v38
	v_mul_u32_u24_e32 v39, 0xadc8, v38
	v_mul_u32_u24_e32 v38, 0xd47, v38
	s_delay_alu instid0(VALU_DEP_1) | instskip(SKIP_2) | instid1(VALU_DEP_3)
	v_dual_sub_nc_u32 v49, 0, v38 :: v_dual_sub_nc_u32 v39, v37, v39
	v_xor_b32_e32 v48, 0x7fffffff, v38
	v_add_nc_u32_e32 v37, -1, v37
	v_mul_lo_u32 v39, 0xbc8f, v39
	s_delay_alu instid0(VALU_DEP_1) | instskip(NEXT) | instid1(VALU_DEP_4)
	v_cmp_lt_u32_e32 vcc_lo, v39, v38
	v_cndmask_b32_e32 v38, v49, v48, vcc_lo
	s_delay_alu instid0(VALU_DEP_1) | instskip(NEXT) | instid1(VALU_DEP_1)
	v_add_nc_u32_e32 v48, v38, v39
	v_mul_hi_u32 v38, 0xbc8f1391, v48
	s_delay_alu instid0(VALU_DEP_1) | instskip(NEXT) | instid1(VALU_DEP_1)
	v_lshrrev_b32_e32 v38, 15, v38
	v_mul_u32_u24_e32 v39, 0xadc8, v38
	s_delay_alu instid0(VALU_DEP_1) | instskip(NEXT) | instid1(VALU_DEP_1)
	v_sub_nc_u32_e32 v39, v48, v39
	v_mul_lo_u32 v49, 0xbc8f, v39
	v_mul_u32_u24_e32 v39, 0xd47, v38
	v_cvt_f32_u32_e32 v38, v36
	s_delay_alu instid0(VALU_DEP_2) | instskip(SKIP_3) | instid1(VALU_DEP_3)
	v_xor_b32_e32 v36, 0x7fffffff, v39
	v_sub_nc_u32_e32 v55, 0, v39
	v_cmp_lt_u32_e32 vcc_lo, v49, v39
	v_cvt_f32_u32_e32 v39, v37
	v_cndmask_b32_e32 v36, v55, v36, vcc_lo
	s_delay_alu instid0(VALU_DEP_2) | instskip(NEXT) | instid1(VALU_DEP_2)
	v_pk_fma_f32 v[38:39], v[38:39], s[18:19], 0 op_sel_hi:[1,0,0]
	v_dual_add_nc_u32 v37, v36, v49 :: v_dual_add_nc_u32 v36, -1, v48
	s_delay_alu instid0(VALU_DEP_2) | instskip(NEXT) | instid1(VALU_DEP_2)
	v_pk_mul_f32 v[38:39], v[38:39], v[38:39]
	v_add_nc_u32_e32 v49, -1, v37
	s_delay_alu instid0(VALU_DEP_3) | instskip(NEXT) | instid1(VALU_DEP_3)
	v_cvt_f32_u32_e32 v48, v36
	v_add_f32_e32 v36, v38, v39
	s_delay_alu instid0(VALU_DEP_3) | instskip(NEXT) | instid1(VALU_DEP_2)
	v_cvt_f32_u32_e32 v49, v49
	v_cmp_gt_f32_e32 vcc_lo, 0xf800000, v36
	s_delay_alu instid0(VALU_DEP_2) | instskip(SKIP_1) | instid1(VALU_DEP_2)
	v_pk_fma_f32 v[38:39], v[48:49], s[18:19], 0 op_sel_hi:[1,0,0]
	v_mul_f32_e32 v48, 0x4f800000, v36
	v_pk_mul_f32 v[38:39], v[38:39], v[38:39]
	s_delay_alu instid0(VALU_DEP_1) | instskip(NEXT) | instid1(VALU_DEP_1)
	v_add_f32_e32 v38, v38, v39
	v_cmp_gt_f32_e64 s15, 0xf800000, v38
	s_delay_alu instid0(VALU_DEP_4) | instskip(SKIP_1) | instid1(VALU_DEP_1)
	v_cndmask_b32_e32 v36, v36, v48, vcc_lo
	v_mul_f32_e32 v48, 0x4f800000, v38
	v_cndmask_b32_e64 v38, v38, v48, s15
	s_delay_alu instid0(VALU_DEP_3) | instskip(NEXT) | instid1(VALU_DEP_1)
	v_sqrt_f32_e32 v39, v36
	v_sqrt_f32_e32 v64, v38
	s_delay_alu instid0(TRANS32_DEP_2) | instskip(NEXT) | instid1(VALU_DEP_1)
	v_dual_add_nc_u32 v49, -1, v39 :: v_dual_add_nc_u32 v48, 1, v39
	v_fma_f32 v55, -v49, v39, v36
	s_delay_alu instid0(VALU_DEP_1) | instskip(NEXT) | instid1(VALU_DEP_1)
	v_cmp_ge_f32_e64 s16, 0, v55
	v_dual_fma_f32 v65, -v48, v39, v36 :: v_dual_cndmask_b32 v39, v39, v49, s16
	s_delay_alu instid0(VALU_DEP_1) | instskip(NEXT) | instid1(TRANS32_DEP_1)
	v_cmp_lt_f32_e64 s16, 0, v65
	v_add_nc_u32_e32 v49, -1, v64
	s_delay_alu instid0(VALU_DEP_2) | instskip(NEXT) | instid1(VALU_DEP_2)
	v_cndmask_b32_e64 v39, v39, v48, s16
	v_dual_add_nc_u32 v48, 1, v64 :: v_dual_fma_f32 v55, -v49, v64, v38
	s_delay_alu instid0(VALU_DEP_1) | instskip(NEXT) | instid1(VALU_DEP_1)
	v_cmp_ge_f32_e64 s16, 0, v55
	v_cndmask_b32_e64 v49, v64, v49, s16
	s_delay_alu instid0(VALU_DEP_4) | instskip(NEXT) | instid1(VALU_DEP_1)
	v_mul_f32_e32 v65, 0x37800000, v39
	v_cndmask_b32_e32 v39, v39, v65, vcc_lo
	v_cmp_class_f32_e64 vcc_lo, v36, 0x260
	s_delay_alu instid0(VALU_DEP_2) | instskip(NEXT) | instid1(VALU_DEP_1)
	v_cndmask_b32_e32 v36, v39, v36, vcc_lo
	v_cmp_nge_f32_e32 vcc_lo, 1.0, v36
	s_delay_alu instid0(VALU_DEP_3) | instskip(NEXT) | instid1(VALU_DEP_1)
	v_dual_fma_f32 v66, -v48, v64, v38 :: v_dual_cndmask_b32 v15, v54, v15, vcc_lo
	v_cmp_lt_f32_e64 s16, 0, v66
	v_cmp_class_f32_e64 vcc_lo, v38, 0x260
	s_delay_alu instid0(VALU_DEP_2) | instskip(NEXT) | instid1(VALU_DEP_1)
	v_cndmask_b32_e64 v48, v49, v48, s16
	v_mul_f32_e32 v39, 0x37800000, v48
	s_delay_alu instid0(VALU_DEP_1) | instskip(NEXT) | instid1(VALU_DEP_1)
	v_cndmask_b32_e64 v36, v48, v39, s15
	v_dual_add_f32 v39, 1.0, v15 :: v_dual_cndmask_b32 v36, v36, v38
	s_delay_alu instid0(VALU_DEP_1) | instskip(NEXT) | instid1(VALU_DEP_2)
	v_cmp_nge_f32_e32 vcc_lo, 1.0, v36
	v_cndmask_b32_e32 v15, v39, v15, vcc_lo
	s_cbranch_scc1 .LBB27_1058
; %bb.1059:
	s_delay_alu instid0(VALU_DEP_1) | instskip(NEXT) | instid1(VALU_DEP_1)
	v_mul_f32_e32 v15, 4.0, v15
	v_div_scale_f32 v36, null, 0x459c4000, 0x459c4000, v15
	s_delay_alu instid0(VALU_DEP_1) | instskip(SKIP_1) | instid1(TRANS32_DEP_1)
	v_rcp_f32_e32 v37, v36
	v_nop
	v_fma_f32 v38, -v36, v37, 1.0
	s_delay_alu instid0(VALU_DEP_1) | instskip(SKIP_1) | instid1(VALU_DEP_1)
	v_fmac_f32_e32 v37, v38, v37
	v_div_scale_f32 v38, vcc_lo, v15, 0x459c4000, v15
	v_mul_f32_e32 v39, v38, v37
	s_delay_alu instid0(VALU_DEP_1) | instskip(NEXT) | instid1(VALU_DEP_1)
	v_fma_f32 v48, -v36, v39, v38
	v_fmac_f32_e32 v39, v48, v37
	s_delay_alu instid0(VALU_DEP_1) | instskip(NEXT) | instid1(VALU_DEP_1)
	v_fma_f32 v36, -v36, v39, v38
	v_div_fmas_f32 v36, v36, v37, v39
	s_delay_alu instid0(VALU_DEP_1)
	v_div_fixup_f32 v15, v36, 0x459c4000, v15
.LBB27_1060:
	s_or_b32 exec_lo, exec_lo, s26
	v_or_b32_e32 v36, 0x1000, v50
	s_delay_alu instid0(VALU_DEP_1)
	v_cmp_lt_u32_e64 s15, v36, v52
	s_and_saveexec_b32 s26, s15
	s_cbranch_execz .LBB27_1070
; %bb.1061:
	v_dual_mov_b32 v37, 1 :: v_dual_add_nc_u32 v16, v53, v36
	s_mov_b32 s17, 0
	s_mov_b32 s27, exec_lo
	s_delay_alu instid0(VALU_DEP_1) | instskip(NEXT) | instid1(VALU_DEP_1)
	v_mul_lo_u32 v36, 0x1388, v16
	v_cmpx_ne_u32_e32 0, v36
	s_cbranch_execz .LBB27_1067
; %bb.1062:
	v_mov_b32_e32 v37, 0
	v_mov_b64_e32 v[48:49], 1
	s_mov_b64 s[24:25], 0xbc8f
	s_mov_b64 s[18:19], 0xfffffffd
	;; [unrolled: 1-line block ×3, first 2 shown]
	v_mov_b64_e32 v[38:39], v[36:37]
	s_mov_b64 s[22:23], 0x80000001
	s_mov_b32 s28, 0
	s_branch .LBB27_1064
.LBB27_1063:                            ;   in Loop: Header=BB27_1064 Depth=1
	s_or_b32 exec_lo, exec_lo, s16
	s_mul_u64 s[24:25], s[24:25], s[24:25]
	s_mov_b32 s41, s17
	s_and_b64 s[42:43], s[24:25], s[18:19]
	s_mov_b32 s16, s25
	s_mul_u64 s[46:47], s[42:43], 3
	s_mul_u64 s[56:57], s[16:17], 3
	s_mov_b32 s40, s47
	s_mul_u64 s[42:43], s[42:43], s[22:23]
	s_add_nc_u64 s[40:41], s[56:57], s[40:41]
	v_lshrrev_b64 v[54:55], 1, v[38:39]
	s_and_b64 s[56:57], s[40:41], s[20:21]
	s_mov_b32 s47, s17
	s_add_nc_u64 s[42:43], s[42:43], s[56:57]
	s_mov_b32 s59, s17
	s_mov_b32 s46, s41
	;; [unrolled: 1-line block ×3, first 2 shown]
	s_mul_u64 s[42:43], s[16:17], s[22:23]
	s_add_nc_u64 s[40:41], s[46:47], s[58:59]
	v_cmp_gt_u64_e32 vcc_lo, 2, v[38:39]
	s_add_nc_u64 s[40:41], s[42:43], s[40:41]
	v_mov_b64_e32 v[38:39], v[54:55]
	s_lshr_b64 s[40:41], s[40:41], 30
	s_delay_alu instid0(SALU_CYCLE_1)
	s_mul_u64 s[40:41], s[40:41], 0x7fffffff
	s_or_b32 s28, vcc_lo, s28
	s_sub_nc_u64 s[24:25], s[24:25], s[40:41]
	s_and_not1_b32 exec_lo, exec_lo, s28
	s_cbranch_execz .LBB27_1066
.LBB27_1064:                            ; =>This Inner Loop Header: Depth=1
	s_delay_alu instid0(VALU_DEP_1) | instskip(SKIP_1) | instid1(VALU_DEP_1)
	v_and_b32_e32 v16, 1, v38
	s_mov_b32 s16, exec_lo
	v_cmpx_eq_u32_e32 1, v16
	s_cbranch_execz .LBB27_1063
; %bb.1065:                             ;   in Loop: Header=BB27_1064 Depth=1
	v_mul_u64_e32 v[48:49], s[24:25], v[48:49]
	s_delay_alu instid0(VALU_DEP_1) | instskip(NEXT) | instid1(VALU_DEP_1)
	v_mov_b32_e32 v36, v48
	v_mul_u64_e32 v[54:55], 5, v[36:37]
	s_delay_alu instid0(VALU_DEP_1) | instskip(NEXT) | instid1(VALU_DEP_1)
	v_mov_b32_e32 v36, v55
	v_mad_nc_u64_u32 v[54:55], v49, 5, v[36:37]
	s_delay_alu instid0(VALU_DEP_1) | instskip(NEXT) | instid1(VALU_DEP_1)
	v_dual_mov_b32 v36, v55 :: v_dual_mov_b32 v55, v37
	v_mad_nc_u64_u32 v[54:55], v48, 2, v[54:55]
	s_delay_alu instid0(VALU_DEP_1) | instskip(NEXT) | instid1(VALU_DEP_1)
	v_dual_mov_b32 v54, v55 :: v_dual_mov_b32 v55, v37
	v_add_nc_u64_e32 v[54:55], v[36:37], v[54:55]
	s_delay_alu instid0(VALU_DEP_1) | instskip(NEXT) | instid1(VALU_DEP_1)
	v_mad_nc_u64_u32 v[54:55], v49, 2, v[54:55]
	v_sub_nc_u64_e32 v[64:65], v[48:49], v[54:55]
	s_delay_alu instid0(VALU_DEP_1) | instskip(NEXT) | instid1(VALU_DEP_1)
	v_lshrrev_b64 v[64:65], 1, v[64:65]
	v_add_nc_u64_e32 v[54:55], v[64:65], v[54:55]
	s_delay_alu instid0(VALU_DEP_1) | instskip(NEXT) | instid1(VALU_DEP_1)
	v_lshrrev_b64 v[54:55], 30, v[54:55]
	v_mul_u64_e32 v[54:55], 0x7fffffff, v[54:55]
	s_delay_alu instid0(VALU_DEP_1)
	v_sub_nc_u64_e32 v[48:49], v[48:49], v[54:55]
	s_branch .LBB27_1063
.LBB27_1066:
	s_or_b32 exec_lo, exec_lo, s28
	v_add_min_u32_e64 v16, 0x80000001, v48, v48
	s_delay_alu instid0(VALU_DEP_1)
	v_add_min_u32_e64 v37, 0x80000001, v16, v16
.LBB27_1067:
	s_or_b32 exec_lo, exec_lo, s27
	v_mov_b32_e32 v16, 0
	s_movk_i32 s19, 0x1388
	s_brev_b32 s18, 12
.LBB27_1068:                            ; =>This Inner Loop Header: Depth=1
	v_mul_hi_u32 v36, 0xbc8f1391, v37
	s_delay_alu instid0(VALU_DEP_2) | instskip(NEXT) | instid1(VALU_DEP_2)
	v_add_f32_e32 v54, 1.0, v16
	v_lshrrev_b32_e32 v36, 15, v36
	s_delay_alu instid0(VALU_DEP_1) | instskip(NEXT) | instid1(VALU_DEP_1)
	v_mul_u32_u24_e32 v38, 0xadc8, v36
	v_sub_nc_u32_e32 v37, v37, v38
	v_mul_u32_u24_e32 v36, 0xd47, v36
	s_delay_alu instid0(VALU_DEP_2) | instskip(NEXT) | instid1(VALU_DEP_2)
	v_mul_lo_u32 v37, 0xbc8f, v37
	v_xor_b32_e32 v38, 0x7fffffff, v36
	v_sub_nc_u32_e32 v39, 0, v36
	s_delay_alu instid0(VALU_DEP_3) | instskip(NEXT) | instid1(VALU_DEP_2)
	v_cmp_lt_u32_e32 vcc_lo, v37, v36
	v_cndmask_b32_e32 v36, v39, v38, vcc_lo
	s_delay_alu instid0(VALU_DEP_1) | instskip(NEXT) | instid1(VALU_DEP_1)
	v_add_nc_u32_e32 v36, v36, v37
	v_mul_hi_u32 v37, 0xbc8f1391, v36
	s_delay_alu instid0(VALU_DEP_1) | instskip(NEXT) | instid1(VALU_DEP_1)
	v_lshrrev_b32_e32 v37, 15, v37
	v_mul_u32_u24_e32 v38, 0xadc8, v37
	v_mul_u32_u24_e32 v37, 0xd47, v37
	s_delay_alu instid0(VALU_DEP_1) | instskip(SKIP_1) | instid1(VALU_DEP_2)
	v_dual_sub_nc_u32 v38, v36, v38 :: v_dual_sub_nc_u32 v48, 0, v37
	v_xor_b32_e32 v39, 0x7fffffff, v37
	v_mul_lo_u32 v38, 0xbc8f, v38
	s_delay_alu instid0(VALU_DEP_1) | instskip(NEXT) | instid1(VALU_DEP_3)
	v_cmp_lt_u32_e32 vcc_lo, v38, v37
	v_cndmask_b32_e32 v37, v48, v39, vcc_lo
	s_delay_alu instid0(VALU_DEP_1) | instskip(NEXT) | instid1(VALU_DEP_1)
	v_add_nc_u32_e32 v37, v37, v38
	v_mul_hi_u32 v38, 0xbc8f1391, v37
	s_delay_alu instid0(VALU_DEP_1) | instskip(NEXT) | instid1(VALU_DEP_1)
	v_lshrrev_b32_e32 v38, 15, v38
	v_mul_u32_u24_e32 v39, 0xadc8, v38
	v_mul_u32_u24_e32 v38, 0xd47, v38
	s_delay_alu instid0(VALU_DEP_1) | instskip(SKIP_1) | instid1(VALU_DEP_2)
	v_dual_sub_nc_u32 v49, 0, v38 :: v_dual_sub_nc_u32 v39, v37, v39
	v_xor_b32_e32 v48, 0x7fffffff, v38
	v_mul_lo_u32 v39, 0xbc8f, v39
	s_delay_alu instid0(VALU_DEP_1) | instskip(NEXT) | instid1(VALU_DEP_3)
	v_cmp_lt_u32_e32 vcc_lo, v39, v38
	v_cndmask_b32_e32 v38, v49, v48, vcc_lo
	s_delay_alu instid0(VALU_DEP_1) | instskip(NEXT) | instid1(VALU_DEP_1)
	v_add_nc_u32_e32 v48, v38, v39
	v_mul_hi_u32 v38, 0xbc8f1391, v48
	s_delay_alu instid0(VALU_DEP_1) | instskip(NEXT) | instid1(VALU_DEP_1)
	v_lshrrev_b32_e32 v38, 15, v38
	v_mul_u32_u24_e32 v39, 0xadc8, v38
	s_delay_alu instid0(VALU_DEP_1) | instskip(NEXT) | instid1(VALU_DEP_1)
	v_sub_nc_u32_e32 v39, v48, v39
	v_mul_lo_u32 v49, 0xbc8f, v39
	v_mul_u32_u24_e32 v39, 0xd47, v38
	s_delay_alu instid0(VALU_DEP_1) | instskip(NEXT) | instid1(VALU_DEP_1)
	v_dual_add_nc_u32 v36, -1, v36 :: v_dual_sub_nc_u32 v55, 0, v39
	v_cvt_f32_u32_e32 v38, v36
	v_xor_b32_e32 v36, 0x7fffffff, v39
	v_cmp_lt_u32_e32 vcc_lo, v49, v39
	s_delay_alu instid0(VALU_DEP_2) | instskip(NEXT) | instid1(VALU_DEP_1)
	v_dual_cndmask_b32 v36, v55, v36 :: v_dual_add_nc_u32 v37, -1, v37
	v_cvt_f32_u32_e32 v39, v37
	s_delay_alu instid0(VALU_DEP_2) | instskip(NEXT) | instid1(VALU_DEP_2)
	v_dual_add_nc_u32 v37, v36, v49 :: v_dual_add_nc_u32 v36, -1, v48
	v_pk_fma_f32 v[38:39], v[38:39], s[18:19], 0 op_sel_hi:[1,0,0]
	s_delay_alu instid0(VALU_DEP_2) | instskip(NEXT) | instid1(VALU_DEP_2)
	v_cvt_f32_u32_e32 v48, v36
	v_pk_mul_f32 v[38:39], v[38:39], v[38:39]
	s_delay_alu instid0(VALU_DEP_1) | instskip(NEXT) | instid1(VALU_DEP_1)
	v_dual_add_f32 v36, v38, v39 :: v_dual_add_nc_u32 v49, -1, v37
	v_cvt_f32_u32_e32 v49, v49
	s_delay_alu instid0(VALU_DEP_2) | instskip(NEXT) | instid1(VALU_DEP_2)
	v_cmp_gt_f32_e32 vcc_lo, 0xf800000, v36
	v_pk_fma_f32 v[38:39], v[48:49], s[18:19], 0 op_sel_hi:[1,0,0]
	v_mul_f32_e32 v48, 0x4f800000, v36
	s_add_co_i32 s19, s19, -2
	s_delay_alu instid0(SALU_CYCLE_1) | instskip(NEXT) | instid1(VALU_DEP_2)
	s_cmp_lg_u32 s19, 0
	v_pk_mul_f32 v[38:39], v[38:39], v[38:39]
	s_delay_alu instid0(VALU_DEP_1) | instskip(NEXT) | instid1(VALU_DEP_1)
	v_dual_cndmask_b32 v36, v36, v48, vcc_lo :: v_dual_add_f32 v38, v38, v39
	v_sqrt_f32_e32 v39, v36
	s_delay_alu instid0(VALU_DEP_1)
	v_mul_f32_e32 v48, 0x4f800000, v38
	v_cmp_gt_f32_e64 s16, 0xf800000, v38
	s_delay_alu instid0(TRANS32_DEP_1) | instid1(VALU_DEP_1)
	v_dual_add_nc_u32 v49, -1, v39 :: v_dual_cndmask_b32 v38, v38, v48, s16
	s_delay_alu instid0(VALU_DEP_1) | instskip(NEXT) | instid1(VALU_DEP_2)
	v_dual_add_nc_u32 v48, 1, v39 :: v_dual_fma_f32 v55, -v49, v39, v36
	v_sqrt_f32_e32 v64, v38
	s_delay_alu instid0(VALU_DEP_1) | instskip(NEXT) | instid1(VALU_DEP_2)
	v_fma_f32 v65, -v48, v39, v36
	v_cmp_ge_f32_e64 s17, 0, v55
	s_delay_alu instid0(VALU_DEP_1) | instskip(NEXT) | instid1(VALU_DEP_3)
	v_cndmask_b32_e64 v39, v39, v49, s17
	v_cmp_lt_f32_e64 s17, 0, v65
	s_delay_alu instid0(TRANS32_DEP_1) | instskip(NEXT) | instid1(VALU_DEP_2)
	v_add_nc_u32_e32 v49, -1, v64
	v_cndmask_b32_e64 v39, v39, v48, s17
	s_delay_alu instid0(VALU_DEP_2) | instskip(NEXT) | instid1(VALU_DEP_1)
	v_dual_add_nc_u32 v48, 1, v64 :: v_dual_fma_f32 v55, -v49, v64, v38
	v_fma_f32 v66, -v48, v64, v38
	s_delay_alu instid0(VALU_DEP_2) | instskip(NEXT) | instid1(VALU_DEP_1)
	v_cmp_ge_f32_e64 s17, 0, v55
	v_cndmask_b32_e64 v49, v64, v49, s17
	v_mul_f32_e32 v65, 0x37800000, v39
	s_delay_alu instid0(VALU_DEP_4) | instskip(NEXT) | instid1(VALU_DEP_1)
	v_cmp_lt_f32_e64 s17, 0, v66
	v_dual_cndmask_b32 v39, v39, v65, vcc_lo :: v_dual_cndmask_b32 v48, v49, v48, s17
	v_cmp_class_f32_e64 vcc_lo, v36, 0x260
	s_delay_alu instid0(VALU_DEP_2) | instskip(NEXT) | instid1(VALU_DEP_1)
	v_cndmask_b32_e32 v36, v39, v36, vcc_lo
	v_cmp_nge_f32_e32 vcc_lo, 1.0, v36
	v_cndmask_b32_e32 v16, v54, v16, vcc_lo
	v_cmp_class_f32_e64 vcc_lo, v38, 0x260
	v_mul_f32_e32 v39, 0x37800000, v48
	s_delay_alu instid0(VALU_DEP_1) | instskip(NEXT) | instid1(VALU_DEP_1)
	v_dual_cndmask_b32 v36, v48, v39, s16 :: v_dual_add_f32 v39, 1.0, v16
	v_cndmask_b32_e32 v36, v36, v38, vcc_lo
	s_delay_alu instid0(VALU_DEP_1) | instskip(NEXT) | instid1(VALU_DEP_3)
	v_cmp_nge_f32_e32 vcc_lo, 1.0, v36
	v_cndmask_b32_e32 v16, v39, v16, vcc_lo
	s_cbranch_scc1 .LBB27_1068
; %bb.1069:
	s_delay_alu instid0(VALU_DEP_1) | instskip(NEXT) | instid1(VALU_DEP_1)
	v_mul_f32_e32 v16, 4.0, v16
	v_div_scale_f32 v36, null, 0x459c4000, 0x459c4000, v16
	s_delay_alu instid0(VALU_DEP_1) | instskip(SKIP_1) | instid1(TRANS32_DEP_1)
	v_rcp_f32_e32 v37, v36
	v_nop
	v_fma_f32 v38, -v36, v37, 1.0
	s_delay_alu instid0(VALU_DEP_1) | instskip(SKIP_1) | instid1(VALU_DEP_1)
	v_fmac_f32_e32 v37, v38, v37
	v_div_scale_f32 v38, vcc_lo, v16, 0x459c4000, v16
	v_mul_f32_e32 v39, v38, v37
	s_delay_alu instid0(VALU_DEP_1) | instskip(NEXT) | instid1(VALU_DEP_1)
	v_fma_f32 v48, -v36, v39, v38
	v_fmac_f32_e32 v39, v48, v37
	s_delay_alu instid0(VALU_DEP_1) | instskip(NEXT) | instid1(VALU_DEP_1)
	v_fma_f32 v36, -v36, v39, v38
	v_div_fmas_f32 v36, v36, v37, v39
	s_delay_alu instid0(VALU_DEP_1)
	v_div_fixup_f32 v16, v36, 0x459c4000, v16
.LBB27_1070:
	s_or_b32 exec_lo, exec_lo, s26
	v_add_nc_u32_e32 v36, 0x1100, v50
	s_delay_alu instid0(VALU_DEP_1)
	v_cmp_lt_u32_e64 s16, v36, v52
	s_and_saveexec_b32 s28, s16
	s_cbranch_execz .LBB27_1080
; %bb.1071:
	v_dual_add_nc_u32 v17, v53, v36 :: v_dual_mov_b32 v37, 1
	s_mov_b32 s19, 0
	s_mov_b32 s17, exec_lo
	s_delay_alu instid0(VALU_DEP_1) | instskip(NEXT) | instid1(VALU_DEP_1)
	v_mul_lo_u32 v36, 0x1388, v17
	v_cmpx_ne_u32_e32 0, v36
	s_cbranch_execz .LBB27_1077
; %bb.1072:
	v_mov_b32_e32 v37, 0
	v_mov_b64_e32 v[48:49], 1
	s_mov_b64 s[26:27], 0xbc8f
	s_mov_b64 s[20:21], 0xfffffffd
	;; [unrolled: 1-line block ×3, first 2 shown]
	v_mov_b64_e32 v[38:39], v[36:37]
	s_mov_b64 s[24:25], 0x80000001
	s_mov_b32 s29, 0
	s_branch .LBB27_1074
.LBB27_1073:                            ;   in Loop: Header=BB27_1074 Depth=1
	s_or_b32 exec_lo, exec_lo, s18
	s_mul_u64 s[26:27], s[26:27], s[26:27]
	s_mov_b32 s41, s19
	s_and_b64 s[42:43], s[26:27], s[20:21]
	s_mov_b32 s18, s27
	s_mul_u64 s[46:47], s[42:43], 3
	s_mul_u64 s[56:57], s[18:19], 3
	s_mov_b32 s40, s47
	s_mul_u64 s[42:43], s[42:43], s[24:25]
	s_add_nc_u64 s[40:41], s[56:57], s[40:41]
	v_lshrrev_b64 v[54:55], 1, v[38:39]
	s_and_b64 s[56:57], s[40:41], s[22:23]
	s_mov_b32 s47, s19
	s_add_nc_u64 s[42:43], s[42:43], s[56:57]
	s_mov_b32 s59, s19
	s_mov_b32 s46, s41
	;; [unrolled: 1-line block ×3, first 2 shown]
	s_mul_u64 s[42:43], s[18:19], s[24:25]
	s_add_nc_u64 s[40:41], s[46:47], s[58:59]
	v_cmp_gt_u64_e32 vcc_lo, 2, v[38:39]
	s_add_nc_u64 s[40:41], s[42:43], s[40:41]
	v_mov_b64_e32 v[38:39], v[54:55]
	s_lshr_b64 s[40:41], s[40:41], 30
	s_delay_alu instid0(SALU_CYCLE_1)
	s_mul_u64 s[40:41], s[40:41], 0x7fffffff
	s_or_b32 s29, vcc_lo, s29
	s_sub_nc_u64 s[26:27], s[26:27], s[40:41]
	s_and_not1_b32 exec_lo, exec_lo, s29
	s_cbranch_execz .LBB27_1076
.LBB27_1074:                            ; =>This Inner Loop Header: Depth=1
	s_delay_alu instid0(VALU_DEP_1) | instskip(SKIP_1) | instid1(VALU_DEP_1)
	v_and_b32_e32 v17, 1, v38
	s_mov_b32 s18, exec_lo
	v_cmpx_eq_u32_e32 1, v17
	s_cbranch_execz .LBB27_1073
; %bb.1075:                             ;   in Loop: Header=BB27_1074 Depth=1
	v_mul_u64_e32 v[48:49], s[26:27], v[48:49]
	s_delay_alu instid0(VALU_DEP_1) | instskip(NEXT) | instid1(VALU_DEP_1)
	v_mov_b32_e32 v36, v48
	v_mul_u64_e32 v[54:55], 5, v[36:37]
	s_delay_alu instid0(VALU_DEP_1) | instskip(NEXT) | instid1(VALU_DEP_1)
	v_mov_b32_e32 v36, v55
	v_mad_nc_u64_u32 v[54:55], v49, 5, v[36:37]
	s_delay_alu instid0(VALU_DEP_1) | instskip(NEXT) | instid1(VALU_DEP_1)
	v_dual_mov_b32 v36, v55 :: v_dual_mov_b32 v55, v37
	v_mad_nc_u64_u32 v[54:55], v48, 2, v[54:55]
	s_delay_alu instid0(VALU_DEP_1) | instskip(NEXT) | instid1(VALU_DEP_1)
	v_dual_mov_b32 v54, v55 :: v_dual_mov_b32 v55, v37
	v_add_nc_u64_e32 v[54:55], v[36:37], v[54:55]
	s_delay_alu instid0(VALU_DEP_1) | instskip(NEXT) | instid1(VALU_DEP_1)
	v_mad_nc_u64_u32 v[54:55], v49, 2, v[54:55]
	v_sub_nc_u64_e32 v[64:65], v[48:49], v[54:55]
	s_delay_alu instid0(VALU_DEP_1) | instskip(NEXT) | instid1(VALU_DEP_1)
	v_lshrrev_b64 v[64:65], 1, v[64:65]
	v_add_nc_u64_e32 v[54:55], v[64:65], v[54:55]
	s_delay_alu instid0(VALU_DEP_1) | instskip(NEXT) | instid1(VALU_DEP_1)
	v_lshrrev_b64 v[54:55], 30, v[54:55]
	v_mul_u64_e32 v[54:55], 0x7fffffff, v[54:55]
	s_delay_alu instid0(VALU_DEP_1)
	v_sub_nc_u64_e32 v[48:49], v[48:49], v[54:55]
	s_branch .LBB27_1073
.LBB27_1076:
	s_or_b32 exec_lo, exec_lo, s29
	v_add_min_u32_e64 v17, 0x80000001, v48, v48
	s_delay_alu instid0(VALU_DEP_1)
	v_add_min_u32_e64 v37, 0x80000001, v17, v17
.LBB27_1077:
	s_or_b32 exec_lo, exec_lo, s17
	v_mov_b32_e32 v17, 0
	s_movk_i32 s19, 0x1388
	s_brev_b32 s20, 12
.LBB27_1078:                            ; =>This Inner Loop Header: Depth=1
	v_mul_hi_u32 v36, 0xbc8f1391, v37
	s_add_co_i32 s19, s19, -2
	s_delay_alu instid0(VALU_DEP_2) | instskip(SKIP_1) | instid1(VALU_DEP_2)
	v_add_f32_e32 v54, 1.0, v17
	s_cmp_lg_u32 s19, 0
	v_lshrrev_b32_e32 v36, 15, v36
	s_delay_alu instid0(VALU_DEP_1) | instskip(NEXT) | instid1(VALU_DEP_1)
	v_mul_u32_u24_e32 v38, 0xadc8, v36
	v_sub_nc_u32_e32 v37, v37, v38
	v_mul_u32_u24_e32 v36, 0xd47, v36
	s_delay_alu instid0(VALU_DEP_2) | instskip(NEXT) | instid1(VALU_DEP_2)
	v_mul_lo_u32 v37, 0xbc8f, v37
	v_xor_b32_e32 v38, 0x7fffffff, v36
	v_sub_nc_u32_e32 v39, 0, v36
	s_delay_alu instid0(VALU_DEP_3) | instskip(NEXT) | instid1(VALU_DEP_2)
	v_cmp_lt_u32_e32 vcc_lo, v37, v36
	v_cndmask_b32_e32 v36, v39, v38, vcc_lo
	s_delay_alu instid0(VALU_DEP_1) | instskip(NEXT) | instid1(VALU_DEP_1)
	v_add_nc_u32_e32 v36, v36, v37
	v_mul_hi_u32 v37, 0xbc8f1391, v36
	s_delay_alu instid0(VALU_DEP_1) | instskip(NEXT) | instid1(VALU_DEP_1)
	v_lshrrev_b32_e32 v37, 15, v37
	v_mul_u32_u24_e32 v38, 0xadc8, v37
	v_mul_u32_u24_e32 v37, 0xd47, v37
	s_delay_alu instid0(VALU_DEP_1) | instskip(SKIP_2) | instid1(VALU_DEP_3)
	v_dual_sub_nc_u32 v38, v36, v38 :: v_dual_sub_nc_u32 v48, 0, v37
	v_xor_b32_e32 v39, 0x7fffffff, v37
	v_add_nc_u32_e32 v36, -1, v36
	v_mul_lo_u32 v38, 0xbc8f, v38
	s_delay_alu instid0(VALU_DEP_1) | instskip(NEXT) | instid1(VALU_DEP_4)
	v_cmp_lt_u32_e32 vcc_lo, v38, v37
	v_cndmask_b32_e32 v37, v48, v39, vcc_lo
	s_delay_alu instid0(VALU_DEP_1) | instskip(NEXT) | instid1(VALU_DEP_1)
	v_add_nc_u32_e32 v37, v37, v38
	v_mul_hi_u32 v38, 0xbc8f1391, v37
	s_delay_alu instid0(VALU_DEP_1) | instskip(NEXT) | instid1(VALU_DEP_1)
	v_lshrrev_b32_e32 v38, 15, v38
	v_mul_u32_u24_e32 v39, 0xadc8, v38
	v_mul_u32_u24_e32 v38, 0xd47, v38
	s_delay_alu instid0(VALU_DEP_1) | instskip(SKIP_2) | instid1(VALU_DEP_3)
	v_dual_sub_nc_u32 v49, 0, v38 :: v_dual_sub_nc_u32 v39, v37, v39
	v_xor_b32_e32 v48, 0x7fffffff, v38
	v_add_nc_u32_e32 v37, -1, v37
	v_mul_lo_u32 v39, 0xbc8f, v39
	s_delay_alu instid0(VALU_DEP_1) | instskip(NEXT) | instid1(VALU_DEP_4)
	v_cmp_lt_u32_e32 vcc_lo, v39, v38
	v_cndmask_b32_e32 v38, v49, v48, vcc_lo
	s_delay_alu instid0(VALU_DEP_1) | instskip(NEXT) | instid1(VALU_DEP_1)
	v_add_nc_u32_e32 v48, v38, v39
	v_mul_hi_u32 v38, 0xbc8f1391, v48
	s_delay_alu instid0(VALU_DEP_1) | instskip(NEXT) | instid1(VALU_DEP_1)
	v_lshrrev_b32_e32 v38, 15, v38
	v_mul_u32_u24_e32 v39, 0xadc8, v38
	s_delay_alu instid0(VALU_DEP_1) | instskip(NEXT) | instid1(VALU_DEP_1)
	v_sub_nc_u32_e32 v39, v48, v39
	v_mul_lo_u32 v49, 0xbc8f, v39
	v_mul_u32_u24_e32 v39, 0xd47, v38
	v_cvt_f32_u32_e32 v38, v36
	s_delay_alu instid0(VALU_DEP_2) | instskip(SKIP_3) | instid1(VALU_DEP_3)
	v_xor_b32_e32 v36, 0x7fffffff, v39
	v_sub_nc_u32_e32 v55, 0, v39
	v_cmp_lt_u32_e32 vcc_lo, v49, v39
	v_cvt_f32_u32_e32 v39, v37
	v_cndmask_b32_e32 v36, v55, v36, vcc_lo
	s_delay_alu instid0(VALU_DEP_2) | instskip(NEXT) | instid1(VALU_DEP_2)
	v_pk_fma_f32 v[38:39], v[38:39], s[20:21], 0 op_sel_hi:[1,0,0]
	v_dual_add_nc_u32 v37, v36, v49 :: v_dual_add_nc_u32 v36, -1, v48
	s_delay_alu instid0(VALU_DEP_2) | instskip(NEXT) | instid1(VALU_DEP_2)
	v_pk_mul_f32 v[38:39], v[38:39], v[38:39]
	v_add_nc_u32_e32 v49, -1, v37
	s_delay_alu instid0(VALU_DEP_3) | instskip(NEXT) | instid1(VALU_DEP_3)
	v_cvt_f32_u32_e32 v48, v36
	v_add_f32_e32 v36, v38, v39
	s_delay_alu instid0(VALU_DEP_3) | instskip(NEXT) | instid1(VALU_DEP_2)
	v_cvt_f32_u32_e32 v49, v49
	v_cmp_gt_f32_e32 vcc_lo, 0xf800000, v36
	s_delay_alu instid0(VALU_DEP_2) | instskip(SKIP_1) | instid1(VALU_DEP_2)
	v_pk_fma_f32 v[38:39], v[48:49], s[20:21], 0 op_sel_hi:[1,0,0]
	v_mul_f32_e32 v48, 0x4f800000, v36
	v_pk_mul_f32 v[38:39], v[38:39], v[38:39]
	s_delay_alu instid0(VALU_DEP_1) | instskip(NEXT) | instid1(VALU_DEP_1)
	v_add_f32_e32 v38, v38, v39
	v_cmp_gt_f32_e64 s17, 0xf800000, v38
	s_delay_alu instid0(VALU_DEP_4) | instskip(SKIP_1) | instid1(VALU_DEP_1)
	v_cndmask_b32_e32 v36, v36, v48, vcc_lo
	v_mul_f32_e32 v48, 0x4f800000, v38
	v_cndmask_b32_e64 v38, v38, v48, s17
	s_delay_alu instid0(VALU_DEP_3) | instskip(NEXT) | instid1(VALU_DEP_1)
	v_sqrt_f32_e32 v39, v36
	v_sqrt_f32_e32 v64, v38
	s_delay_alu instid0(TRANS32_DEP_2) | instskip(NEXT) | instid1(VALU_DEP_1)
	v_dual_add_nc_u32 v49, -1, v39 :: v_dual_add_nc_u32 v48, 1, v39
	v_fma_f32 v55, -v49, v39, v36
	s_delay_alu instid0(VALU_DEP_1) | instskip(NEXT) | instid1(VALU_DEP_1)
	v_cmp_ge_f32_e64 s18, 0, v55
	v_dual_fma_f32 v65, -v48, v39, v36 :: v_dual_cndmask_b32 v39, v39, v49, s18
	s_delay_alu instid0(VALU_DEP_1) | instskip(NEXT) | instid1(TRANS32_DEP_1)
	v_cmp_lt_f32_e64 s18, 0, v65
	v_add_nc_u32_e32 v49, -1, v64
	s_delay_alu instid0(VALU_DEP_2) | instskip(NEXT) | instid1(VALU_DEP_2)
	v_cndmask_b32_e64 v39, v39, v48, s18
	v_dual_add_nc_u32 v48, 1, v64 :: v_dual_fma_f32 v55, -v49, v64, v38
	s_delay_alu instid0(VALU_DEP_1) | instskip(NEXT) | instid1(VALU_DEP_1)
	v_cmp_ge_f32_e64 s18, 0, v55
	v_cndmask_b32_e64 v49, v64, v49, s18
	s_delay_alu instid0(VALU_DEP_4) | instskip(NEXT) | instid1(VALU_DEP_1)
	v_mul_f32_e32 v65, 0x37800000, v39
	v_cndmask_b32_e32 v39, v39, v65, vcc_lo
	v_cmp_class_f32_e64 vcc_lo, v36, 0x260
	s_delay_alu instid0(VALU_DEP_2) | instskip(NEXT) | instid1(VALU_DEP_1)
	v_cndmask_b32_e32 v36, v39, v36, vcc_lo
	v_cmp_nge_f32_e32 vcc_lo, 1.0, v36
	s_delay_alu instid0(VALU_DEP_3) | instskip(NEXT) | instid1(VALU_DEP_1)
	v_dual_fma_f32 v66, -v48, v64, v38 :: v_dual_cndmask_b32 v17, v54, v17, vcc_lo
	v_cmp_lt_f32_e64 s18, 0, v66
	v_cmp_class_f32_e64 vcc_lo, v38, 0x260
	s_delay_alu instid0(VALU_DEP_2) | instskip(NEXT) | instid1(VALU_DEP_1)
	v_cndmask_b32_e64 v48, v49, v48, s18
	v_mul_f32_e32 v39, 0x37800000, v48
	s_delay_alu instid0(VALU_DEP_1) | instskip(NEXT) | instid1(VALU_DEP_1)
	v_dual_cndmask_b32 v36, v48, v39, s17 :: v_dual_add_f32 v39, 1.0, v17
	v_cndmask_b32_e32 v36, v36, v38, vcc_lo
	s_delay_alu instid0(VALU_DEP_1) | instskip(NEXT) | instid1(VALU_DEP_3)
	v_cmp_nge_f32_e32 vcc_lo, 1.0, v36
	v_cndmask_b32_e32 v17, v39, v17, vcc_lo
	s_cbranch_scc1 .LBB27_1078
; %bb.1079:
	s_delay_alu instid0(VALU_DEP_1) | instskip(NEXT) | instid1(VALU_DEP_1)
	v_mul_f32_e32 v17, 4.0, v17
	v_div_scale_f32 v36, null, 0x459c4000, 0x459c4000, v17
	s_delay_alu instid0(VALU_DEP_1) | instskip(SKIP_1) | instid1(TRANS32_DEP_1)
	v_rcp_f32_e32 v37, v36
	v_nop
	v_fma_f32 v38, -v36, v37, 1.0
	s_delay_alu instid0(VALU_DEP_1) | instskip(SKIP_1) | instid1(VALU_DEP_1)
	v_fmac_f32_e32 v37, v38, v37
	v_div_scale_f32 v38, vcc_lo, v17, 0x459c4000, v17
	v_mul_f32_e32 v39, v38, v37
	s_delay_alu instid0(VALU_DEP_1) | instskip(NEXT) | instid1(VALU_DEP_1)
	v_fma_f32 v48, -v36, v39, v38
	v_fmac_f32_e32 v39, v48, v37
	s_delay_alu instid0(VALU_DEP_1) | instskip(NEXT) | instid1(VALU_DEP_1)
	v_fma_f32 v36, -v36, v39, v38
	v_div_fmas_f32 v36, v36, v37, v39
	s_delay_alu instid0(VALU_DEP_1)
	v_div_fixup_f32 v17, v36, 0x459c4000, v17
.LBB27_1080:
	s_or_b32 exec_lo, exec_lo, s28
	v_add_nc_u32_e32 v36, 0x1200, v50
	s_delay_alu instid0(VALU_DEP_1)
	v_cmp_lt_u32_e64 s17, v36, v52
	s_and_saveexec_b32 s28, s17
	s_cbranch_execz .LBB27_1090
; %bb.1081:
	v_dual_mov_b32 v37, 1 :: v_dual_add_nc_u32 v18, v53, v36
	s_mov_b32 s19, 0
	s_mov_b32 s29, exec_lo
	s_delay_alu instid0(VALU_DEP_1) | instskip(NEXT) | instid1(VALU_DEP_1)
	v_mul_lo_u32 v36, 0x1388, v18
	v_cmpx_ne_u32_e32 0, v36
	s_cbranch_execz .LBB27_1087
; %bb.1082:
	v_mov_b32_e32 v37, 0
	v_mov_b64_e32 v[48:49], 1
	s_mov_b64 s[26:27], 0xbc8f
	s_mov_b64 s[20:21], 0xfffffffd
	s_mov_b64 s[22:23], 0xffffffff
	v_mov_b64_e32 v[38:39], v[36:37]
	s_mov_b64 s[24:25], 0x80000001
	s_mov_b32 s40, 0
	s_branch .LBB27_1084
.LBB27_1083:                            ;   in Loop: Header=BB27_1084 Depth=1
	s_or_b32 exec_lo, exec_lo, s18
	s_mul_u64 s[26:27], s[26:27], s[26:27]
	s_mov_b32 s43, s19
	s_and_b64 s[46:47], s[26:27], s[20:21]
	s_mov_b32 s18, s27
	s_mul_u64 s[56:57], s[46:47], 3
	s_mul_u64 s[58:59], s[18:19], 3
	s_mov_b32 s42, s57
	s_mul_u64 s[46:47], s[46:47], s[24:25]
	s_add_nc_u64 s[42:43], s[58:59], s[42:43]
	v_lshrrev_b64 v[54:55], 1, v[38:39]
	s_and_b64 s[58:59], s[42:43], s[22:23]
	s_mov_b32 s57, s19
	s_add_nc_u64 s[46:47], s[46:47], s[58:59]
	s_mov_b32 s61, s19
	s_mov_b32 s56, s43
	;; [unrolled: 1-line block ×3, first 2 shown]
	s_mul_u64 s[46:47], s[18:19], s[24:25]
	s_add_nc_u64 s[42:43], s[56:57], s[60:61]
	v_cmp_gt_u64_e32 vcc_lo, 2, v[38:39]
	s_add_nc_u64 s[42:43], s[46:47], s[42:43]
	v_mov_b64_e32 v[38:39], v[54:55]
	s_lshr_b64 s[42:43], s[42:43], 30
	s_delay_alu instid0(SALU_CYCLE_1)
	s_mul_u64 s[42:43], s[42:43], 0x7fffffff
	s_or_b32 s40, vcc_lo, s40
	s_sub_nc_u64 s[26:27], s[26:27], s[42:43]
	s_and_not1_b32 exec_lo, exec_lo, s40
	s_cbranch_execz .LBB27_1086
.LBB27_1084:                            ; =>This Inner Loop Header: Depth=1
	s_delay_alu instid0(VALU_DEP_1) | instskip(SKIP_1) | instid1(VALU_DEP_1)
	v_and_b32_e32 v18, 1, v38
	s_mov_b32 s18, exec_lo
	v_cmpx_eq_u32_e32 1, v18
	s_cbranch_execz .LBB27_1083
; %bb.1085:                             ;   in Loop: Header=BB27_1084 Depth=1
	v_mul_u64_e32 v[48:49], s[26:27], v[48:49]
	s_delay_alu instid0(VALU_DEP_1) | instskip(NEXT) | instid1(VALU_DEP_1)
	v_mov_b32_e32 v36, v48
	v_mul_u64_e32 v[54:55], 5, v[36:37]
	s_delay_alu instid0(VALU_DEP_1) | instskip(NEXT) | instid1(VALU_DEP_1)
	v_mov_b32_e32 v36, v55
	v_mad_nc_u64_u32 v[54:55], v49, 5, v[36:37]
	s_delay_alu instid0(VALU_DEP_1) | instskip(NEXT) | instid1(VALU_DEP_1)
	v_dual_mov_b32 v36, v55 :: v_dual_mov_b32 v55, v37
	v_mad_nc_u64_u32 v[54:55], v48, 2, v[54:55]
	s_delay_alu instid0(VALU_DEP_1) | instskip(NEXT) | instid1(VALU_DEP_1)
	v_dual_mov_b32 v54, v55 :: v_dual_mov_b32 v55, v37
	v_add_nc_u64_e32 v[54:55], v[36:37], v[54:55]
	s_delay_alu instid0(VALU_DEP_1) | instskip(NEXT) | instid1(VALU_DEP_1)
	v_mad_nc_u64_u32 v[54:55], v49, 2, v[54:55]
	v_sub_nc_u64_e32 v[64:65], v[48:49], v[54:55]
	s_delay_alu instid0(VALU_DEP_1) | instskip(NEXT) | instid1(VALU_DEP_1)
	v_lshrrev_b64 v[64:65], 1, v[64:65]
	v_add_nc_u64_e32 v[54:55], v[64:65], v[54:55]
	s_delay_alu instid0(VALU_DEP_1) | instskip(NEXT) | instid1(VALU_DEP_1)
	v_lshrrev_b64 v[54:55], 30, v[54:55]
	v_mul_u64_e32 v[54:55], 0x7fffffff, v[54:55]
	s_delay_alu instid0(VALU_DEP_1)
	v_sub_nc_u64_e32 v[48:49], v[48:49], v[54:55]
	s_branch .LBB27_1083
.LBB27_1086:
	s_or_b32 exec_lo, exec_lo, s40
	v_add_min_u32_e64 v18, 0x80000001, v48, v48
	s_delay_alu instid0(VALU_DEP_1)
	v_add_min_u32_e64 v37, 0x80000001, v18, v18
.LBB27_1087:
	s_or_b32 exec_lo, exec_lo, s29
	v_mov_b32_e32 v18, 0
	s_movk_i32 s21, 0x1388
	s_brev_b32 s20, 12
.LBB27_1088:                            ; =>This Inner Loop Header: Depth=1
	v_mul_hi_u32 v36, 0xbc8f1391, v37
	s_delay_alu instid0(VALU_DEP_1) | instskip(NEXT) | instid1(VALU_DEP_1)
	v_dual_add_f32 v54, 1.0, v18 :: v_dual_lshrrev_b32 v36, 15, v36
	v_mul_u32_u24_e32 v38, 0xadc8, v36
	s_delay_alu instid0(VALU_DEP_1) | instskip(SKIP_1) | instid1(VALU_DEP_2)
	v_sub_nc_u32_e32 v37, v37, v38
	v_mul_u32_u24_e32 v36, 0xd47, v36
	v_mul_lo_u32 v37, 0xbc8f, v37
	s_delay_alu instid0(VALU_DEP_2) | instskip(SKIP_1) | instid1(VALU_DEP_3)
	v_xor_b32_e32 v38, 0x7fffffff, v36
	v_sub_nc_u32_e32 v39, 0, v36
	v_cmp_lt_u32_e32 vcc_lo, v37, v36
	s_delay_alu instid0(VALU_DEP_2) | instskip(NEXT) | instid1(VALU_DEP_1)
	v_cndmask_b32_e32 v36, v39, v38, vcc_lo
	v_add_nc_u32_e32 v36, v36, v37
	s_delay_alu instid0(VALU_DEP_1) | instskip(NEXT) | instid1(VALU_DEP_1)
	v_mul_hi_u32 v37, 0xbc8f1391, v36
	v_lshrrev_b32_e32 v37, 15, v37
	s_delay_alu instid0(VALU_DEP_1) | instskip(SKIP_1) | instid1(VALU_DEP_1)
	v_mul_u32_u24_e32 v38, 0xadc8, v37
	v_mul_u32_u24_e32 v37, 0xd47, v37
	v_dual_sub_nc_u32 v38, v36, v38 :: v_dual_sub_nc_u32 v48, 0, v37
	v_xor_b32_e32 v39, 0x7fffffff, v37
	v_add_nc_u32_e32 v36, -1, v36
	s_delay_alu instid0(VALU_DEP_3) | instskip(NEXT) | instid1(VALU_DEP_1)
	v_mul_lo_u32 v38, 0xbc8f, v38
	v_cmp_lt_u32_e32 vcc_lo, v38, v37
	s_delay_alu instid0(VALU_DEP_4) | instskip(NEXT) | instid1(VALU_DEP_1)
	v_cndmask_b32_e32 v37, v48, v39, vcc_lo
	v_add_nc_u32_e32 v37, v37, v38
	s_delay_alu instid0(VALU_DEP_1) | instskip(NEXT) | instid1(VALU_DEP_1)
	v_mul_hi_u32 v38, 0xbc8f1391, v37
	v_lshrrev_b32_e32 v38, 15, v38
	s_delay_alu instid0(VALU_DEP_1) | instskip(SKIP_1) | instid1(VALU_DEP_1)
	v_mul_u32_u24_e32 v39, 0xadc8, v38
	v_mul_u32_u24_e32 v38, 0xd47, v38
	v_dual_sub_nc_u32 v49, 0, v38 :: v_dual_sub_nc_u32 v39, v37, v39
	v_xor_b32_e32 v48, 0x7fffffff, v38
	v_add_nc_u32_e32 v37, -1, v37
	s_delay_alu instid0(VALU_DEP_3) | instskip(NEXT) | instid1(VALU_DEP_1)
	v_mul_lo_u32 v39, 0xbc8f, v39
	v_cmp_lt_u32_e32 vcc_lo, v39, v38
	s_delay_alu instid0(VALU_DEP_4) | instskip(NEXT) | instid1(VALU_DEP_1)
	v_cndmask_b32_e32 v38, v49, v48, vcc_lo
	v_add_nc_u32_e32 v48, v38, v39
	s_delay_alu instid0(VALU_DEP_1) | instskip(NEXT) | instid1(VALU_DEP_1)
	v_mul_hi_u32 v38, 0xbc8f1391, v48
	v_lshrrev_b32_e32 v38, 15, v38
	s_delay_alu instid0(VALU_DEP_1) | instskip(NEXT) | instid1(VALU_DEP_1)
	v_mul_u32_u24_e32 v39, 0xadc8, v38
	v_sub_nc_u32_e32 v39, v48, v39
	s_delay_alu instid0(VALU_DEP_1) | instskip(SKIP_2) | instid1(VALU_DEP_2)
	v_mul_lo_u32 v49, 0xbc8f, v39
	v_mul_u32_u24_e32 v39, 0xd47, v38
	v_cvt_f32_u32_e32 v38, v36
	v_xor_b32_e32 v36, 0x7fffffff, v39
	v_sub_nc_u32_e32 v55, 0, v39
	v_cmp_lt_u32_e32 vcc_lo, v49, v39
	v_cvt_f32_u32_e32 v39, v37
	s_delay_alu instid0(VALU_DEP_3) | instskip(NEXT) | instid1(VALU_DEP_2)
	v_cndmask_b32_e32 v36, v55, v36, vcc_lo
	v_pk_fma_f32 v[38:39], v[38:39], s[20:21], 0 op_sel_hi:[1,0,0]
	s_delay_alu instid0(VALU_DEP_2) | instskip(NEXT) | instid1(VALU_DEP_2)
	v_dual_add_nc_u32 v37, v36, v49 :: v_dual_add_nc_u32 v36, -1, v48
	v_pk_mul_f32 v[38:39], v[38:39], v[38:39]
	s_delay_alu instid0(VALU_DEP_2) | instskip(NEXT) | instid1(VALU_DEP_3)
	v_add_nc_u32_e32 v49, -1, v37
	v_cvt_f32_u32_e32 v48, v36
	s_delay_alu instid0(VALU_DEP_3) | instskip(NEXT) | instid1(VALU_DEP_3)
	v_add_f32_e32 v36, v38, v39
	v_cvt_f32_u32_e32 v49, v49
	s_delay_alu instid0(VALU_DEP_2) | instskip(NEXT) | instid1(VALU_DEP_2)
	v_cmp_gt_f32_e32 vcc_lo, 0xf800000, v36
	v_pk_fma_f32 v[38:39], v[48:49], s[20:21], 0 op_sel_hi:[1,0,0]
	v_mul_f32_e32 v48, 0x4f800000, v36
	s_add_co_i32 s21, s21, -2
	s_delay_alu instid0(SALU_CYCLE_1) | instskip(NEXT) | instid1(VALU_DEP_2)
	s_cmp_lg_u32 s21, 0
	v_pk_mul_f32 v[38:39], v[38:39], v[38:39]
	s_delay_alu instid0(VALU_DEP_1) | instskip(NEXT) | instid1(VALU_DEP_1)
	v_add_f32_e32 v38, v38, v39
	v_cmp_gt_f32_e64 s18, 0xf800000, v38
	v_cndmask_b32_e32 v36, v36, v48, vcc_lo
	v_mul_f32_e32 v48, 0x4f800000, v38
	s_delay_alu instid0(VALU_DEP_1) | instskip(NEXT) | instid1(VALU_DEP_3)
	v_cndmask_b32_e64 v38, v38, v48, s18
	v_sqrt_f32_e32 v39, v36
	s_delay_alu instid0(VALU_DEP_1) | instskip(NEXT) | instid1(TRANS32_DEP_2)
	v_sqrt_f32_e32 v64, v38
	v_dual_add_nc_u32 v49, -1, v39 :: v_dual_add_nc_u32 v48, 1, v39
	s_delay_alu instid0(VALU_DEP_1) | instskip(NEXT) | instid1(VALU_DEP_1)
	v_fma_f32 v55, -v49, v39, v36
	v_cmp_ge_f32_e64 s19, 0, v55
	s_delay_alu instid0(VALU_DEP_1) | instskip(NEXT) | instid1(VALU_DEP_1)
	v_dual_fma_f32 v65, -v48, v39, v36 :: v_dual_cndmask_b32 v39, v39, v49, s19
	v_cmp_lt_f32_e64 s19, 0, v65
	s_delay_alu instid0(TRANS32_DEP_1) | instskip(NEXT) | instid1(VALU_DEP_2)
	v_add_nc_u32_e32 v49, -1, v64
	v_cndmask_b32_e64 v39, v39, v48, s19
	s_delay_alu instid0(VALU_DEP_2) | instskip(NEXT) | instid1(VALU_DEP_1)
	v_dual_add_nc_u32 v48, 1, v64 :: v_dual_fma_f32 v55, -v49, v64, v38
	v_cmp_ge_f32_e64 s19, 0, v55
	s_delay_alu instid0(VALU_DEP_1) | instskip(NEXT) | instid1(VALU_DEP_4)
	v_cndmask_b32_e64 v49, v64, v49, s19
	v_mul_f32_e32 v65, 0x37800000, v39
	s_delay_alu instid0(VALU_DEP_1) | instskip(SKIP_1) | instid1(VALU_DEP_2)
	v_cndmask_b32_e32 v39, v39, v65, vcc_lo
	v_cmp_class_f32_e64 vcc_lo, v36, 0x260
	v_cndmask_b32_e32 v36, v39, v36, vcc_lo
	s_delay_alu instid0(VALU_DEP_1) | instskip(NEXT) | instid1(VALU_DEP_3)
	v_cmp_nge_f32_e32 vcc_lo, 1.0, v36
	v_dual_fma_f32 v66, -v48, v64, v38 :: v_dual_cndmask_b32 v18, v54, v18, vcc_lo
	s_delay_alu instid0(VALU_DEP_1) | instskip(SKIP_1) | instid1(VALU_DEP_2)
	v_cmp_lt_f32_e64 s19, 0, v66
	v_cmp_class_f32_e64 vcc_lo, v38, 0x260
	v_cndmask_b32_e64 v48, v49, v48, s19
	s_delay_alu instid0(VALU_DEP_1) | instskip(NEXT) | instid1(VALU_DEP_1)
	v_mul_f32_e32 v39, 0x37800000, v48
	v_dual_cndmask_b32 v36, v48, v39, s18 :: v_dual_add_f32 v39, 1.0, v18
	s_delay_alu instid0(VALU_DEP_1) | instskip(NEXT) | instid1(VALU_DEP_1)
	v_cndmask_b32_e32 v36, v36, v38, vcc_lo
	v_cmp_nge_f32_e32 vcc_lo, 1.0, v36
	s_delay_alu instid0(VALU_DEP_3)
	v_cndmask_b32_e32 v18, v39, v18, vcc_lo
	s_cbranch_scc1 .LBB27_1088
; %bb.1089:
	s_delay_alu instid0(VALU_DEP_1) | instskip(NEXT) | instid1(VALU_DEP_1)
	v_mul_f32_e32 v18, 4.0, v18
	v_div_scale_f32 v36, null, 0x459c4000, 0x459c4000, v18
	s_delay_alu instid0(VALU_DEP_1) | instskip(SKIP_1) | instid1(TRANS32_DEP_1)
	v_rcp_f32_e32 v37, v36
	v_nop
	v_fma_f32 v38, -v36, v37, 1.0
	s_delay_alu instid0(VALU_DEP_1) | instskip(SKIP_1) | instid1(VALU_DEP_1)
	v_fmac_f32_e32 v37, v38, v37
	v_div_scale_f32 v38, vcc_lo, v18, 0x459c4000, v18
	v_mul_f32_e32 v39, v38, v37
	s_delay_alu instid0(VALU_DEP_1) | instskip(NEXT) | instid1(VALU_DEP_1)
	v_fma_f32 v48, -v36, v39, v38
	v_fmac_f32_e32 v39, v48, v37
	s_delay_alu instid0(VALU_DEP_1) | instskip(NEXT) | instid1(VALU_DEP_1)
	v_fma_f32 v36, -v36, v39, v38
	v_div_fmas_f32 v36, v36, v37, v39
	s_delay_alu instid0(VALU_DEP_1)
	v_div_fixup_f32 v18, v36, 0x459c4000, v18
.LBB27_1090:
	s_or_b32 exec_lo, exec_lo, s28
	v_add_nc_u32_e32 v36, 0x1300, v50
	s_delay_alu instid0(VALU_DEP_1)
	v_cmp_lt_u32_e64 s18, v36, v52
	s_and_saveexec_b32 s40, s18
	s_cbranch_execz .LBB27_1100
; %bb.1091:
	v_dual_add_nc_u32 v19, v53, v36 :: v_dual_mov_b32 v37, 1
	s_mov_b32 s21, 0
	s_mov_b32 s19, exec_lo
	s_delay_alu instid0(VALU_DEP_1) | instskip(NEXT) | instid1(VALU_DEP_1)
	v_mul_lo_u32 v36, 0x1388, v19
	v_cmpx_ne_u32_e32 0, v36
	s_cbranch_execz .LBB27_1097
; %bb.1092:
	v_mov_b32_e32 v37, 0
	v_mov_b64_e32 v[48:49], 1
	s_mov_b64 s[28:29], 0xbc8f
	s_mov_b64 s[22:23], 0xfffffffd
	;; [unrolled: 1-line block ×3, first 2 shown]
	v_mov_b64_e32 v[38:39], v[36:37]
	s_mov_b64 s[26:27], 0x80000001
	s_mov_b32 s41, 0
	s_branch .LBB27_1094
.LBB27_1093:                            ;   in Loop: Header=BB27_1094 Depth=1
	s_or_b32 exec_lo, exec_lo, s20
	s_mul_u64 s[28:29], s[28:29], s[28:29]
	s_mov_b32 s43, s21
	s_and_b64 s[46:47], s[28:29], s[22:23]
	s_mov_b32 s20, s29
	s_mul_u64 s[56:57], s[46:47], 3
	s_mul_u64 s[58:59], s[20:21], 3
	s_mov_b32 s42, s57
	s_mul_u64 s[46:47], s[46:47], s[26:27]
	s_add_nc_u64 s[42:43], s[58:59], s[42:43]
	v_lshrrev_b64 v[54:55], 1, v[38:39]
	s_and_b64 s[58:59], s[42:43], s[24:25]
	s_mov_b32 s57, s21
	s_add_nc_u64 s[46:47], s[46:47], s[58:59]
	s_mov_b32 s61, s21
	s_mov_b32 s56, s43
	;; [unrolled: 1-line block ×3, first 2 shown]
	s_mul_u64 s[46:47], s[20:21], s[26:27]
	s_add_nc_u64 s[42:43], s[56:57], s[60:61]
	v_cmp_gt_u64_e32 vcc_lo, 2, v[38:39]
	s_add_nc_u64 s[42:43], s[46:47], s[42:43]
	v_mov_b64_e32 v[38:39], v[54:55]
	s_lshr_b64 s[42:43], s[42:43], 30
	s_delay_alu instid0(SALU_CYCLE_1)
	s_mul_u64 s[42:43], s[42:43], 0x7fffffff
	s_or_b32 s41, vcc_lo, s41
	s_sub_nc_u64 s[28:29], s[28:29], s[42:43]
	s_and_not1_b32 exec_lo, exec_lo, s41
	s_cbranch_execz .LBB27_1096
.LBB27_1094:                            ; =>This Inner Loop Header: Depth=1
	s_delay_alu instid0(VALU_DEP_1) | instskip(SKIP_1) | instid1(VALU_DEP_1)
	v_and_b32_e32 v19, 1, v38
	s_mov_b32 s20, exec_lo
	v_cmpx_eq_u32_e32 1, v19
	s_cbranch_execz .LBB27_1093
; %bb.1095:                             ;   in Loop: Header=BB27_1094 Depth=1
	v_mul_u64_e32 v[48:49], s[28:29], v[48:49]
	s_delay_alu instid0(VALU_DEP_1) | instskip(NEXT) | instid1(VALU_DEP_1)
	v_mov_b32_e32 v36, v48
	v_mul_u64_e32 v[54:55], 5, v[36:37]
	s_delay_alu instid0(VALU_DEP_1) | instskip(NEXT) | instid1(VALU_DEP_1)
	v_mov_b32_e32 v36, v55
	v_mad_nc_u64_u32 v[54:55], v49, 5, v[36:37]
	s_delay_alu instid0(VALU_DEP_1) | instskip(NEXT) | instid1(VALU_DEP_1)
	v_dual_mov_b32 v36, v55 :: v_dual_mov_b32 v55, v37
	v_mad_nc_u64_u32 v[54:55], v48, 2, v[54:55]
	s_delay_alu instid0(VALU_DEP_1) | instskip(NEXT) | instid1(VALU_DEP_1)
	v_dual_mov_b32 v54, v55 :: v_dual_mov_b32 v55, v37
	v_add_nc_u64_e32 v[54:55], v[36:37], v[54:55]
	s_delay_alu instid0(VALU_DEP_1) | instskip(NEXT) | instid1(VALU_DEP_1)
	v_mad_nc_u64_u32 v[54:55], v49, 2, v[54:55]
	v_sub_nc_u64_e32 v[64:65], v[48:49], v[54:55]
	s_delay_alu instid0(VALU_DEP_1) | instskip(NEXT) | instid1(VALU_DEP_1)
	v_lshrrev_b64 v[64:65], 1, v[64:65]
	v_add_nc_u64_e32 v[54:55], v[64:65], v[54:55]
	s_delay_alu instid0(VALU_DEP_1) | instskip(NEXT) | instid1(VALU_DEP_1)
	v_lshrrev_b64 v[54:55], 30, v[54:55]
	v_mul_u64_e32 v[54:55], 0x7fffffff, v[54:55]
	s_delay_alu instid0(VALU_DEP_1)
	v_sub_nc_u64_e32 v[48:49], v[48:49], v[54:55]
	s_branch .LBB27_1093
.LBB27_1096:
	s_or_b32 exec_lo, exec_lo, s41
	v_add_min_u32_e64 v19, 0x80000001, v48, v48
	s_delay_alu instid0(VALU_DEP_1)
	v_add_min_u32_e64 v37, 0x80000001, v19, v19
.LBB27_1097:
	s_or_b32 exec_lo, exec_lo, s19
	v_mov_b32_e32 v19, 0
	s_movk_i32 s21, 0x1388
	s_brev_b32 s22, 12
.LBB27_1098:                            ; =>This Inner Loop Header: Depth=1
	v_mul_hi_u32 v36, 0xbc8f1391, v37
	s_add_co_i32 s21, s21, -2
	s_delay_alu instid0(VALU_DEP_2) | instskip(SKIP_1) | instid1(VALU_DEP_2)
	v_add_f32_e32 v54, 1.0, v19
	s_cmp_lg_u32 s21, 0
	v_lshrrev_b32_e32 v36, 15, v36
	s_delay_alu instid0(VALU_DEP_1) | instskip(NEXT) | instid1(VALU_DEP_1)
	v_mul_u32_u24_e32 v38, 0xadc8, v36
	v_sub_nc_u32_e32 v37, v37, v38
	v_mul_u32_u24_e32 v36, 0xd47, v36
	s_delay_alu instid0(VALU_DEP_2) | instskip(NEXT) | instid1(VALU_DEP_2)
	v_mul_lo_u32 v37, 0xbc8f, v37
	v_xor_b32_e32 v38, 0x7fffffff, v36
	v_sub_nc_u32_e32 v39, 0, v36
	s_delay_alu instid0(VALU_DEP_3) | instskip(NEXT) | instid1(VALU_DEP_2)
	v_cmp_lt_u32_e32 vcc_lo, v37, v36
	v_cndmask_b32_e32 v36, v39, v38, vcc_lo
	s_delay_alu instid0(VALU_DEP_1) | instskip(NEXT) | instid1(VALU_DEP_1)
	v_add_nc_u32_e32 v36, v36, v37
	v_mul_hi_u32 v37, 0xbc8f1391, v36
	s_delay_alu instid0(VALU_DEP_1) | instskip(NEXT) | instid1(VALU_DEP_1)
	v_lshrrev_b32_e32 v37, 15, v37
	v_mul_u32_u24_e32 v38, 0xadc8, v37
	v_mul_u32_u24_e32 v37, 0xd47, v37
	s_delay_alu instid0(VALU_DEP_1) | instskip(SKIP_2) | instid1(VALU_DEP_3)
	v_dual_sub_nc_u32 v38, v36, v38 :: v_dual_sub_nc_u32 v48, 0, v37
	v_xor_b32_e32 v39, 0x7fffffff, v37
	v_add_nc_u32_e32 v36, -1, v36
	v_mul_lo_u32 v38, 0xbc8f, v38
	s_delay_alu instid0(VALU_DEP_1) | instskip(NEXT) | instid1(VALU_DEP_4)
	v_cmp_lt_u32_e32 vcc_lo, v38, v37
	v_cndmask_b32_e32 v37, v48, v39, vcc_lo
	s_delay_alu instid0(VALU_DEP_1) | instskip(NEXT) | instid1(VALU_DEP_1)
	v_add_nc_u32_e32 v37, v37, v38
	v_mul_hi_u32 v38, 0xbc8f1391, v37
	s_delay_alu instid0(VALU_DEP_1) | instskip(NEXT) | instid1(VALU_DEP_1)
	v_lshrrev_b32_e32 v38, 15, v38
	v_mul_u32_u24_e32 v39, 0xadc8, v38
	v_mul_u32_u24_e32 v38, 0xd47, v38
	s_delay_alu instid0(VALU_DEP_1) | instskip(SKIP_2) | instid1(VALU_DEP_3)
	v_dual_sub_nc_u32 v49, 0, v38 :: v_dual_sub_nc_u32 v39, v37, v39
	v_xor_b32_e32 v48, 0x7fffffff, v38
	v_add_nc_u32_e32 v37, -1, v37
	v_mul_lo_u32 v39, 0xbc8f, v39
	s_delay_alu instid0(VALU_DEP_1) | instskip(NEXT) | instid1(VALU_DEP_4)
	v_cmp_lt_u32_e32 vcc_lo, v39, v38
	v_cndmask_b32_e32 v38, v49, v48, vcc_lo
	s_delay_alu instid0(VALU_DEP_1) | instskip(NEXT) | instid1(VALU_DEP_1)
	v_add_nc_u32_e32 v48, v38, v39
	v_mul_hi_u32 v38, 0xbc8f1391, v48
	s_delay_alu instid0(VALU_DEP_1) | instskip(NEXT) | instid1(VALU_DEP_1)
	v_lshrrev_b32_e32 v38, 15, v38
	v_mul_u32_u24_e32 v39, 0xadc8, v38
	s_delay_alu instid0(VALU_DEP_1) | instskip(NEXT) | instid1(VALU_DEP_1)
	v_sub_nc_u32_e32 v39, v48, v39
	v_mul_lo_u32 v49, 0xbc8f, v39
	v_mul_u32_u24_e32 v39, 0xd47, v38
	v_cvt_f32_u32_e32 v38, v36
	s_delay_alu instid0(VALU_DEP_2) | instskip(SKIP_3) | instid1(VALU_DEP_3)
	v_xor_b32_e32 v36, 0x7fffffff, v39
	v_sub_nc_u32_e32 v55, 0, v39
	v_cmp_lt_u32_e32 vcc_lo, v49, v39
	v_cvt_f32_u32_e32 v39, v37
	v_cndmask_b32_e32 v36, v55, v36, vcc_lo
	s_delay_alu instid0(VALU_DEP_2) | instskip(NEXT) | instid1(VALU_DEP_2)
	v_pk_fma_f32 v[38:39], v[38:39], s[22:23], 0 op_sel_hi:[1,0,0]
	v_dual_add_nc_u32 v37, v36, v49 :: v_dual_add_nc_u32 v36, -1, v48
	s_delay_alu instid0(VALU_DEP_2) | instskip(NEXT) | instid1(VALU_DEP_2)
	v_pk_mul_f32 v[38:39], v[38:39], v[38:39]
	v_add_nc_u32_e32 v49, -1, v37
	s_delay_alu instid0(VALU_DEP_3) | instskip(NEXT) | instid1(VALU_DEP_3)
	v_cvt_f32_u32_e32 v48, v36
	v_add_f32_e32 v36, v38, v39
	s_delay_alu instid0(VALU_DEP_3) | instskip(NEXT) | instid1(VALU_DEP_2)
	v_cvt_f32_u32_e32 v49, v49
	v_cmp_gt_f32_e32 vcc_lo, 0xf800000, v36
	s_delay_alu instid0(VALU_DEP_2) | instskip(SKIP_1) | instid1(VALU_DEP_2)
	v_pk_fma_f32 v[38:39], v[48:49], s[22:23], 0 op_sel_hi:[1,0,0]
	v_mul_f32_e32 v48, 0x4f800000, v36
	v_pk_mul_f32 v[38:39], v[38:39], v[38:39]
	s_delay_alu instid0(VALU_DEP_1) | instskip(NEXT) | instid1(VALU_DEP_1)
	v_add_f32_e32 v38, v38, v39
	v_cmp_gt_f32_e64 s19, 0xf800000, v38
	s_delay_alu instid0(VALU_DEP_4) | instskip(SKIP_1) | instid1(VALU_DEP_1)
	v_cndmask_b32_e32 v36, v36, v48, vcc_lo
	v_mul_f32_e32 v48, 0x4f800000, v38
	v_cndmask_b32_e64 v38, v38, v48, s19
	s_delay_alu instid0(VALU_DEP_3) | instskip(NEXT) | instid1(VALU_DEP_1)
	v_sqrt_f32_e32 v39, v36
	v_sqrt_f32_e32 v64, v38
	s_delay_alu instid0(TRANS32_DEP_2) | instskip(NEXT) | instid1(VALU_DEP_1)
	v_dual_add_nc_u32 v49, -1, v39 :: v_dual_add_nc_u32 v48, 1, v39
	v_fma_f32 v55, -v49, v39, v36
	s_delay_alu instid0(VALU_DEP_1) | instskip(NEXT) | instid1(VALU_DEP_1)
	v_cmp_ge_f32_e64 s20, 0, v55
	v_dual_fma_f32 v65, -v48, v39, v36 :: v_dual_cndmask_b32 v39, v39, v49, s20
	s_delay_alu instid0(VALU_DEP_1) | instskip(NEXT) | instid1(TRANS32_DEP_1)
	v_cmp_lt_f32_e64 s20, 0, v65
	v_add_nc_u32_e32 v49, -1, v64
	s_delay_alu instid0(VALU_DEP_2) | instskip(NEXT) | instid1(VALU_DEP_2)
	v_cndmask_b32_e64 v39, v39, v48, s20
	v_dual_add_nc_u32 v48, 1, v64 :: v_dual_fma_f32 v55, -v49, v64, v38
	s_delay_alu instid0(VALU_DEP_1) | instskip(NEXT) | instid1(VALU_DEP_1)
	v_cmp_ge_f32_e64 s20, 0, v55
	v_cndmask_b32_e64 v49, v64, v49, s20
	s_delay_alu instid0(VALU_DEP_4) | instskip(NEXT) | instid1(VALU_DEP_1)
	v_mul_f32_e32 v65, 0x37800000, v39
	v_cndmask_b32_e32 v39, v39, v65, vcc_lo
	v_cmp_class_f32_e64 vcc_lo, v36, 0x260
	s_delay_alu instid0(VALU_DEP_2) | instskip(NEXT) | instid1(VALU_DEP_1)
	v_cndmask_b32_e32 v36, v39, v36, vcc_lo
	v_cmp_nge_f32_e32 vcc_lo, 1.0, v36
	s_delay_alu instid0(VALU_DEP_3) | instskip(NEXT) | instid1(VALU_DEP_1)
	v_dual_fma_f32 v66, -v48, v64, v38 :: v_dual_cndmask_b32 v19, v54, v19, vcc_lo
	v_cmp_lt_f32_e64 s20, 0, v66
	v_cmp_class_f32_e64 vcc_lo, v38, 0x260
	s_delay_alu instid0(VALU_DEP_2) | instskip(NEXT) | instid1(VALU_DEP_1)
	v_cndmask_b32_e64 v48, v49, v48, s20
	v_mul_f32_e32 v39, 0x37800000, v48
	s_delay_alu instid0(VALU_DEP_1) | instskip(NEXT) | instid1(VALU_DEP_1)
	v_cndmask_b32_e64 v36, v48, v39, s19
	v_dual_add_f32 v39, 1.0, v19 :: v_dual_cndmask_b32 v36, v36, v38
	s_delay_alu instid0(VALU_DEP_1) | instskip(NEXT) | instid1(VALU_DEP_2)
	v_cmp_nge_f32_e32 vcc_lo, 1.0, v36
	v_cndmask_b32_e32 v19, v39, v19, vcc_lo
	s_cbranch_scc1 .LBB27_1098
; %bb.1099:
	s_delay_alu instid0(VALU_DEP_1) | instskip(NEXT) | instid1(VALU_DEP_1)
	v_mul_f32_e32 v19, 4.0, v19
	v_div_scale_f32 v36, null, 0x459c4000, 0x459c4000, v19
	s_delay_alu instid0(VALU_DEP_1) | instskip(SKIP_1) | instid1(TRANS32_DEP_1)
	v_rcp_f32_e32 v37, v36
	v_nop
	v_fma_f32 v38, -v36, v37, 1.0
	s_delay_alu instid0(VALU_DEP_1) | instskip(SKIP_1) | instid1(VALU_DEP_1)
	v_fmac_f32_e32 v37, v38, v37
	v_div_scale_f32 v38, vcc_lo, v19, 0x459c4000, v19
	v_mul_f32_e32 v39, v38, v37
	s_delay_alu instid0(VALU_DEP_1) | instskip(NEXT) | instid1(VALU_DEP_1)
	v_fma_f32 v48, -v36, v39, v38
	v_fmac_f32_e32 v39, v48, v37
	s_delay_alu instid0(VALU_DEP_1) | instskip(NEXT) | instid1(VALU_DEP_1)
	v_fma_f32 v36, -v36, v39, v38
	v_div_fmas_f32 v36, v36, v37, v39
	s_delay_alu instid0(VALU_DEP_1)
	v_div_fixup_f32 v19, v36, 0x459c4000, v19
.LBB27_1100:
	s_or_b32 exec_lo, exec_lo, s40
	v_or_b32_e32 v36, 0x1400, v50
	s_delay_alu instid0(VALU_DEP_1)
	v_cmp_lt_u32_e64 s19, v36, v52
	s_and_saveexec_b32 s40, s19
	s_cbranch_execz .LBB27_1110
; %bb.1101:
	v_dual_mov_b32 v37, 1 :: v_dual_add_nc_u32 v20, v53, v36
	s_mov_b32 s21, 0
	s_mov_b32 s41, exec_lo
	s_delay_alu instid0(VALU_DEP_1) | instskip(NEXT) | instid1(VALU_DEP_1)
	v_mul_lo_u32 v36, 0x1388, v20
	v_cmpx_ne_u32_e32 0, v36
	s_cbranch_execz .LBB27_1107
; %bb.1102:
	v_mov_b32_e32 v37, 0
	v_mov_b64_e32 v[48:49], 1
	s_mov_b64 s[28:29], 0xbc8f
	s_mov_b64 s[22:23], 0xfffffffd
	;; [unrolled: 1-line block ×3, first 2 shown]
	v_mov_b64_e32 v[38:39], v[36:37]
	s_mov_b64 s[26:27], 0x80000001
	s_mov_b32 s42, 0
	s_branch .LBB27_1104
.LBB27_1103:                            ;   in Loop: Header=BB27_1104 Depth=1
	s_or_b32 exec_lo, exec_lo, s20
	s_mul_u64 s[28:29], s[28:29], s[28:29]
	s_mov_b32 s47, s21
	s_and_b64 s[56:57], s[28:29], s[22:23]
	s_mov_b32 s20, s29
	s_mul_u64 s[58:59], s[56:57], 3
	s_mul_u64 s[60:61], s[20:21], 3
	s_mov_b32 s46, s59
	s_mul_u64 s[56:57], s[56:57], s[26:27]
	s_add_nc_u64 s[46:47], s[60:61], s[46:47]
	v_lshrrev_b64 v[54:55], 1, v[38:39]
	s_and_b64 s[60:61], s[46:47], s[24:25]
	s_mov_b32 s59, s21
	s_add_nc_u64 s[56:57], s[56:57], s[60:61]
	s_mov_b32 s73, s21
	s_mov_b32 s58, s47
	;; [unrolled: 1-line block ×3, first 2 shown]
	s_mul_u64 s[56:57], s[20:21], s[26:27]
	s_add_nc_u64 s[46:47], s[58:59], s[72:73]
	v_cmp_gt_u64_e32 vcc_lo, 2, v[38:39]
	s_add_nc_u64 s[46:47], s[56:57], s[46:47]
	v_mov_b64_e32 v[38:39], v[54:55]
	s_lshr_b64 s[46:47], s[46:47], 30
	s_delay_alu instid0(SALU_CYCLE_1)
	s_mul_u64 s[46:47], s[46:47], 0x7fffffff
	s_or_b32 s42, vcc_lo, s42
	s_sub_nc_u64 s[28:29], s[28:29], s[46:47]
	s_and_not1_b32 exec_lo, exec_lo, s42
	s_cbranch_execz .LBB27_1106
.LBB27_1104:                            ; =>This Inner Loop Header: Depth=1
	s_delay_alu instid0(VALU_DEP_1) | instskip(SKIP_1) | instid1(VALU_DEP_1)
	v_and_b32_e32 v20, 1, v38
	s_mov_b32 s20, exec_lo
	v_cmpx_eq_u32_e32 1, v20
	s_cbranch_execz .LBB27_1103
; %bb.1105:                             ;   in Loop: Header=BB27_1104 Depth=1
	v_mul_u64_e32 v[48:49], s[28:29], v[48:49]
	s_delay_alu instid0(VALU_DEP_1) | instskip(NEXT) | instid1(VALU_DEP_1)
	v_mov_b32_e32 v36, v48
	v_mul_u64_e32 v[54:55], 5, v[36:37]
	s_delay_alu instid0(VALU_DEP_1) | instskip(NEXT) | instid1(VALU_DEP_1)
	v_mov_b32_e32 v36, v55
	v_mad_nc_u64_u32 v[54:55], v49, 5, v[36:37]
	s_delay_alu instid0(VALU_DEP_1) | instskip(NEXT) | instid1(VALU_DEP_1)
	v_dual_mov_b32 v36, v55 :: v_dual_mov_b32 v55, v37
	v_mad_nc_u64_u32 v[54:55], v48, 2, v[54:55]
	s_delay_alu instid0(VALU_DEP_1) | instskip(NEXT) | instid1(VALU_DEP_1)
	v_dual_mov_b32 v54, v55 :: v_dual_mov_b32 v55, v37
	v_add_nc_u64_e32 v[54:55], v[36:37], v[54:55]
	s_delay_alu instid0(VALU_DEP_1) | instskip(NEXT) | instid1(VALU_DEP_1)
	v_mad_nc_u64_u32 v[54:55], v49, 2, v[54:55]
	v_sub_nc_u64_e32 v[64:65], v[48:49], v[54:55]
	s_delay_alu instid0(VALU_DEP_1) | instskip(NEXT) | instid1(VALU_DEP_1)
	v_lshrrev_b64 v[64:65], 1, v[64:65]
	v_add_nc_u64_e32 v[54:55], v[64:65], v[54:55]
	s_delay_alu instid0(VALU_DEP_1) | instskip(NEXT) | instid1(VALU_DEP_1)
	v_lshrrev_b64 v[54:55], 30, v[54:55]
	v_mul_u64_e32 v[54:55], 0x7fffffff, v[54:55]
	s_delay_alu instid0(VALU_DEP_1)
	v_sub_nc_u64_e32 v[48:49], v[48:49], v[54:55]
	s_branch .LBB27_1103
.LBB27_1106:
	s_or_b32 exec_lo, exec_lo, s42
	v_add_min_u32_e64 v20, 0x80000001, v48, v48
	s_delay_alu instid0(VALU_DEP_1)
	v_add_min_u32_e64 v37, 0x80000001, v20, v20
.LBB27_1107:
	s_or_b32 exec_lo, exec_lo, s41
	v_mov_b32_e32 v20, 0
	s_movk_i32 s23, 0x1388
	s_brev_b32 s22, 12
.LBB27_1108:                            ; =>This Inner Loop Header: Depth=1
	v_mul_hi_u32 v36, 0xbc8f1391, v37
	s_delay_alu instid0(VALU_DEP_2) | instskip(NEXT) | instid1(VALU_DEP_2)
	v_add_f32_e32 v54, 1.0, v20
	v_lshrrev_b32_e32 v36, 15, v36
	s_delay_alu instid0(VALU_DEP_1) | instskip(NEXT) | instid1(VALU_DEP_1)
	v_mul_u32_u24_e32 v38, 0xadc8, v36
	v_sub_nc_u32_e32 v37, v37, v38
	v_mul_u32_u24_e32 v36, 0xd47, v36
	s_delay_alu instid0(VALU_DEP_2) | instskip(NEXT) | instid1(VALU_DEP_2)
	v_mul_lo_u32 v37, 0xbc8f, v37
	v_xor_b32_e32 v38, 0x7fffffff, v36
	v_sub_nc_u32_e32 v39, 0, v36
	s_delay_alu instid0(VALU_DEP_3) | instskip(NEXT) | instid1(VALU_DEP_2)
	v_cmp_lt_u32_e32 vcc_lo, v37, v36
	v_cndmask_b32_e32 v36, v39, v38, vcc_lo
	s_delay_alu instid0(VALU_DEP_1) | instskip(NEXT) | instid1(VALU_DEP_1)
	v_add_nc_u32_e32 v36, v36, v37
	v_mul_hi_u32 v37, 0xbc8f1391, v36
	s_delay_alu instid0(VALU_DEP_1) | instskip(NEXT) | instid1(VALU_DEP_1)
	v_lshrrev_b32_e32 v37, 15, v37
	v_mul_u32_u24_e32 v38, 0xadc8, v37
	v_mul_u32_u24_e32 v37, 0xd47, v37
	s_delay_alu instid0(VALU_DEP_1) | instskip(SKIP_1) | instid1(VALU_DEP_2)
	v_dual_sub_nc_u32 v38, v36, v38 :: v_dual_sub_nc_u32 v48, 0, v37
	v_xor_b32_e32 v39, 0x7fffffff, v37
	v_mul_lo_u32 v38, 0xbc8f, v38
	s_delay_alu instid0(VALU_DEP_1) | instskip(NEXT) | instid1(VALU_DEP_3)
	v_cmp_lt_u32_e32 vcc_lo, v38, v37
	v_cndmask_b32_e32 v37, v48, v39, vcc_lo
	s_delay_alu instid0(VALU_DEP_1) | instskip(NEXT) | instid1(VALU_DEP_1)
	v_add_nc_u32_e32 v37, v37, v38
	v_mul_hi_u32 v38, 0xbc8f1391, v37
	s_delay_alu instid0(VALU_DEP_1) | instskip(NEXT) | instid1(VALU_DEP_1)
	v_lshrrev_b32_e32 v38, 15, v38
	v_mul_u32_u24_e32 v39, 0xadc8, v38
	v_mul_u32_u24_e32 v38, 0xd47, v38
	s_delay_alu instid0(VALU_DEP_1) | instskip(SKIP_1) | instid1(VALU_DEP_2)
	v_dual_sub_nc_u32 v49, 0, v38 :: v_dual_sub_nc_u32 v39, v37, v39
	v_xor_b32_e32 v48, 0x7fffffff, v38
	v_mul_lo_u32 v39, 0xbc8f, v39
	s_delay_alu instid0(VALU_DEP_1) | instskip(NEXT) | instid1(VALU_DEP_3)
	v_cmp_lt_u32_e32 vcc_lo, v39, v38
	v_cndmask_b32_e32 v38, v49, v48, vcc_lo
	s_delay_alu instid0(VALU_DEP_1) | instskip(NEXT) | instid1(VALU_DEP_1)
	v_add_nc_u32_e32 v48, v38, v39
	v_mul_hi_u32 v38, 0xbc8f1391, v48
	s_delay_alu instid0(VALU_DEP_1) | instskip(NEXT) | instid1(VALU_DEP_1)
	v_lshrrev_b32_e32 v38, 15, v38
	v_mul_u32_u24_e32 v39, 0xadc8, v38
	s_delay_alu instid0(VALU_DEP_1) | instskip(NEXT) | instid1(VALU_DEP_1)
	v_sub_nc_u32_e32 v39, v48, v39
	v_mul_lo_u32 v49, 0xbc8f, v39
	v_mul_u32_u24_e32 v39, 0xd47, v38
	s_delay_alu instid0(VALU_DEP_1) | instskip(NEXT) | instid1(VALU_DEP_1)
	v_dual_add_nc_u32 v36, -1, v36 :: v_dual_sub_nc_u32 v55, 0, v39
	v_cvt_f32_u32_e32 v38, v36
	v_xor_b32_e32 v36, 0x7fffffff, v39
	v_cmp_lt_u32_e32 vcc_lo, v49, v39
	s_delay_alu instid0(VALU_DEP_2) | instskip(NEXT) | instid1(VALU_DEP_1)
	v_dual_cndmask_b32 v36, v55, v36 :: v_dual_add_nc_u32 v37, -1, v37
	v_cvt_f32_u32_e32 v39, v37
	s_delay_alu instid0(VALU_DEP_2) | instskip(NEXT) | instid1(VALU_DEP_2)
	v_dual_add_nc_u32 v37, v36, v49 :: v_dual_add_nc_u32 v36, -1, v48
	v_pk_fma_f32 v[38:39], v[38:39], s[22:23], 0 op_sel_hi:[1,0,0]
	s_delay_alu instid0(VALU_DEP_2) | instskip(NEXT) | instid1(VALU_DEP_2)
	v_cvt_f32_u32_e32 v48, v36
	v_pk_mul_f32 v[38:39], v[38:39], v[38:39]
	s_delay_alu instid0(VALU_DEP_1) | instskip(NEXT) | instid1(VALU_DEP_1)
	v_dual_add_f32 v36, v38, v39 :: v_dual_add_nc_u32 v49, -1, v37
	v_cvt_f32_u32_e32 v49, v49
	s_delay_alu instid0(VALU_DEP_2) | instskip(NEXT) | instid1(VALU_DEP_2)
	v_cmp_gt_f32_e32 vcc_lo, 0xf800000, v36
	v_pk_fma_f32 v[38:39], v[48:49], s[22:23], 0 op_sel_hi:[1,0,0]
	v_mul_f32_e32 v48, 0x4f800000, v36
	s_add_co_i32 s23, s23, -2
	s_delay_alu instid0(SALU_CYCLE_1) | instskip(NEXT) | instid1(VALU_DEP_2)
	s_cmp_lg_u32 s23, 0
	v_pk_mul_f32 v[38:39], v[38:39], v[38:39]
	s_delay_alu instid0(VALU_DEP_1) | instskip(NEXT) | instid1(VALU_DEP_1)
	v_dual_cndmask_b32 v36, v36, v48, vcc_lo :: v_dual_add_f32 v38, v38, v39
	v_sqrt_f32_e32 v39, v36
	s_delay_alu instid0(VALU_DEP_1)
	v_mul_f32_e32 v48, 0x4f800000, v38
	v_cmp_gt_f32_e64 s20, 0xf800000, v38
	s_delay_alu instid0(TRANS32_DEP_1) | instid1(VALU_DEP_1)
	v_dual_add_nc_u32 v49, -1, v39 :: v_dual_cndmask_b32 v38, v38, v48, s20
	s_delay_alu instid0(VALU_DEP_1) | instskip(NEXT) | instid1(VALU_DEP_2)
	v_dual_add_nc_u32 v48, 1, v39 :: v_dual_fma_f32 v55, -v49, v39, v36
	v_sqrt_f32_e32 v64, v38
	s_delay_alu instid0(VALU_DEP_1) | instskip(NEXT) | instid1(VALU_DEP_2)
	v_fma_f32 v65, -v48, v39, v36
	v_cmp_ge_f32_e64 s21, 0, v55
	s_delay_alu instid0(VALU_DEP_1) | instskip(NEXT) | instid1(VALU_DEP_3)
	v_cndmask_b32_e64 v39, v39, v49, s21
	v_cmp_lt_f32_e64 s21, 0, v65
	s_delay_alu instid0(TRANS32_DEP_1) | instskip(NEXT) | instid1(VALU_DEP_2)
	v_add_nc_u32_e32 v49, -1, v64
	v_cndmask_b32_e64 v39, v39, v48, s21
	s_delay_alu instid0(VALU_DEP_2) | instskip(NEXT) | instid1(VALU_DEP_1)
	v_dual_add_nc_u32 v48, 1, v64 :: v_dual_fma_f32 v55, -v49, v64, v38
	v_fma_f32 v66, -v48, v64, v38
	s_delay_alu instid0(VALU_DEP_2) | instskip(NEXT) | instid1(VALU_DEP_1)
	v_cmp_ge_f32_e64 s21, 0, v55
	v_cndmask_b32_e64 v49, v64, v49, s21
	v_mul_f32_e32 v65, 0x37800000, v39
	s_delay_alu instid0(VALU_DEP_4) | instskip(NEXT) | instid1(VALU_DEP_1)
	v_cmp_lt_f32_e64 s21, 0, v66
	v_dual_cndmask_b32 v39, v39, v65, vcc_lo :: v_dual_cndmask_b32 v48, v49, v48, s21
	v_cmp_class_f32_e64 vcc_lo, v36, 0x260
	s_delay_alu instid0(VALU_DEP_2) | instskip(NEXT) | instid1(VALU_DEP_1)
	v_cndmask_b32_e32 v36, v39, v36, vcc_lo
	v_cmp_nge_f32_e32 vcc_lo, 1.0, v36
	v_cndmask_b32_e32 v20, v54, v20, vcc_lo
	v_cmp_class_f32_e64 vcc_lo, v38, 0x260
	v_mul_f32_e32 v39, 0x37800000, v48
	s_delay_alu instid0(VALU_DEP_1) | instskip(NEXT) | instid1(VALU_DEP_1)
	v_dual_cndmask_b32 v36, v48, v39, s20 :: v_dual_add_f32 v39, 1.0, v20
	v_cndmask_b32_e32 v36, v36, v38, vcc_lo
	s_delay_alu instid0(VALU_DEP_1) | instskip(NEXT) | instid1(VALU_DEP_3)
	v_cmp_nge_f32_e32 vcc_lo, 1.0, v36
	v_cndmask_b32_e32 v20, v39, v20, vcc_lo
	s_cbranch_scc1 .LBB27_1108
; %bb.1109:
	s_delay_alu instid0(VALU_DEP_1) | instskip(NEXT) | instid1(VALU_DEP_1)
	v_mul_f32_e32 v20, 4.0, v20
	v_div_scale_f32 v36, null, 0x459c4000, 0x459c4000, v20
	s_delay_alu instid0(VALU_DEP_1) | instskip(SKIP_1) | instid1(TRANS32_DEP_1)
	v_rcp_f32_e32 v37, v36
	v_nop
	v_fma_f32 v38, -v36, v37, 1.0
	s_delay_alu instid0(VALU_DEP_1) | instskip(SKIP_1) | instid1(VALU_DEP_1)
	v_fmac_f32_e32 v37, v38, v37
	v_div_scale_f32 v38, vcc_lo, v20, 0x459c4000, v20
	v_mul_f32_e32 v39, v38, v37
	s_delay_alu instid0(VALU_DEP_1) | instskip(NEXT) | instid1(VALU_DEP_1)
	v_fma_f32 v48, -v36, v39, v38
	v_fmac_f32_e32 v39, v48, v37
	s_delay_alu instid0(VALU_DEP_1) | instskip(NEXT) | instid1(VALU_DEP_1)
	v_fma_f32 v36, -v36, v39, v38
	v_div_fmas_f32 v36, v36, v37, v39
	s_delay_alu instid0(VALU_DEP_1)
	v_div_fixup_f32 v20, v36, 0x459c4000, v20
.LBB27_1110:
	s_or_b32 exec_lo, exec_lo, s40
	v_add_nc_u32_e32 v36, 0x1500, v50
	s_delay_alu instid0(VALU_DEP_1)
	v_cmp_lt_u32_e64 s20, v36, v52
	s_and_saveexec_b32 s42, s20
	s_cbranch_execz .LBB27_1120
; %bb.1111:
	v_dual_add_nc_u32 v21, v53, v36 :: v_dual_mov_b32 v37, 1
	s_mov_b32 s23, 0
	s_mov_b32 s21, exec_lo
	s_delay_alu instid0(VALU_DEP_1) | instskip(NEXT) | instid1(VALU_DEP_1)
	v_mul_lo_u32 v36, 0x1388, v21
	v_cmpx_ne_u32_e32 0, v36
	s_cbranch_execz .LBB27_1117
; %bb.1112:
	v_mov_b32_e32 v37, 0
	v_mov_b64_e32 v[48:49], 1
	s_mov_b64 s[40:41], 0xbc8f
	s_mov_b64 s[24:25], 0xfffffffd
	;; [unrolled: 1-line block ×3, first 2 shown]
	v_mov_b64_e32 v[38:39], v[36:37]
	s_mov_b64 s[28:29], 0x80000001
	s_mov_b32 s43, 0
	s_branch .LBB27_1114
.LBB27_1113:                            ;   in Loop: Header=BB27_1114 Depth=1
	s_or_b32 exec_lo, exec_lo, s22
	s_mul_u64 s[40:41], s[40:41], s[40:41]
	s_mov_b32 s47, s23
	s_and_b64 s[56:57], s[40:41], s[24:25]
	s_mov_b32 s22, s41
	s_mul_u64 s[58:59], s[56:57], 3
	s_mul_u64 s[60:61], s[22:23], 3
	s_mov_b32 s46, s59
	s_mul_u64 s[56:57], s[56:57], s[28:29]
	s_add_nc_u64 s[46:47], s[60:61], s[46:47]
	v_lshrrev_b64 v[54:55], 1, v[38:39]
	s_and_b64 s[60:61], s[46:47], s[26:27]
	s_mov_b32 s59, s23
	s_add_nc_u64 s[56:57], s[56:57], s[60:61]
	s_mov_b32 s73, s23
	s_mov_b32 s58, s47
	;; [unrolled: 1-line block ×3, first 2 shown]
	s_mul_u64 s[56:57], s[22:23], s[28:29]
	s_add_nc_u64 s[46:47], s[58:59], s[72:73]
	v_cmp_gt_u64_e32 vcc_lo, 2, v[38:39]
	s_add_nc_u64 s[46:47], s[56:57], s[46:47]
	v_mov_b64_e32 v[38:39], v[54:55]
	s_lshr_b64 s[46:47], s[46:47], 30
	s_delay_alu instid0(SALU_CYCLE_1)
	s_mul_u64 s[46:47], s[46:47], 0x7fffffff
	s_or_b32 s43, vcc_lo, s43
	s_sub_nc_u64 s[40:41], s[40:41], s[46:47]
	s_and_not1_b32 exec_lo, exec_lo, s43
	s_cbranch_execz .LBB27_1116
.LBB27_1114:                            ; =>This Inner Loop Header: Depth=1
	s_delay_alu instid0(VALU_DEP_1) | instskip(SKIP_1) | instid1(VALU_DEP_1)
	v_and_b32_e32 v21, 1, v38
	s_mov_b32 s22, exec_lo
	v_cmpx_eq_u32_e32 1, v21
	s_cbranch_execz .LBB27_1113
; %bb.1115:                             ;   in Loop: Header=BB27_1114 Depth=1
	v_mul_u64_e32 v[48:49], s[40:41], v[48:49]
	s_delay_alu instid0(VALU_DEP_1) | instskip(NEXT) | instid1(VALU_DEP_1)
	v_mov_b32_e32 v36, v48
	v_mul_u64_e32 v[54:55], 5, v[36:37]
	s_delay_alu instid0(VALU_DEP_1) | instskip(NEXT) | instid1(VALU_DEP_1)
	v_mov_b32_e32 v36, v55
	v_mad_nc_u64_u32 v[54:55], v49, 5, v[36:37]
	s_delay_alu instid0(VALU_DEP_1) | instskip(NEXT) | instid1(VALU_DEP_1)
	v_dual_mov_b32 v36, v55 :: v_dual_mov_b32 v55, v37
	v_mad_nc_u64_u32 v[54:55], v48, 2, v[54:55]
	s_delay_alu instid0(VALU_DEP_1) | instskip(NEXT) | instid1(VALU_DEP_1)
	v_dual_mov_b32 v54, v55 :: v_dual_mov_b32 v55, v37
	v_add_nc_u64_e32 v[54:55], v[36:37], v[54:55]
	s_delay_alu instid0(VALU_DEP_1) | instskip(NEXT) | instid1(VALU_DEP_1)
	v_mad_nc_u64_u32 v[54:55], v49, 2, v[54:55]
	v_sub_nc_u64_e32 v[64:65], v[48:49], v[54:55]
	s_delay_alu instid0(VALU_DEP_1) | instskip(NEXT) | instid1(VALU_DEP_1)
	v_lshrrev_b64 v[64:65], 1, v[64:65]
	v_add_nc_u64_e32 v[54:55], v[64:65], v[54:55]
	s_delay_alu instid0(VALU_DEP_1) | instskip(NEXT) | instid1(VALU_DEP_1)
	v_lshrrev_b64 v[54:55], 30, v[54:55]
	v_mul_u64_e32 v[54:55], 0x7fffffff, v[54:55]
	s_delay_alu instid0(VALU_DEP_1)
	v_sub_nc_u64_e32 v[48:49], v[48:49], v[54:55]
	s_branch .LBB27_1113
.LBB27_1116:
	s_or_b32 exec_lo, exec_lo, s43
	v_add_min_u32_e64 v21, 0x80000001, v48, v48
	s_delay_alu instid0(VALU_DEP_1)
	v_add_min_u32_e64 v37, 0x80000001, v21, v21
.LBB27_1117:
	s_or_b32 exec_lo, exec_lo, s21
	v_mov_b32_e32 v21, 0
	s_movk_i32 s23, 0x1388
	s_brev_b32 s24, 12
.LBB27_1118:                            ; =>This Inner Loop Header: Depth=1
	v_mul_hi_u32 v36, 0xbc8f1391, v37
	s_add_co_i32 s23, s23, -2
	s_delay_alu instid0(VALU_DEP_2) | instskip(SKIP_1) | instid1(VALU_DEP_2)
	v_add_f32_e32 v54, 1.0, v21
	s_cmp_lg_u32 s23, 0
	v_lshrrev_b32_e32 v36, 15, v36
	s_delay_alu instid0(VALU_DEP_1) | instskip(NEXT) | instid1(VALU_DEP_1)
	v_mul_u32_u24_e32 v38, 0xadc8, v36
	v_sub_nc_u32_e32 v37, v37, v38
	v_mul_u32_u24_e32 v36, 0xd47, v36
	s_delay_alu instid0(VALU_DEP_2) | instskip(NEXT) | instid1(VALU_DEP_2)
	v_mul_lo_u32 v37, 0xbc8f, v37
	v_xor_b32_e32 v38, 0x7fffffff, v36
	v_sub_nc_u32_e32 v39, 0, v36
	s_delay_alu instid0(VALU_DEP_3) | instskip(NEXT) | instid1(VALU_DEP_2)
	v_cmp_lt_u32_e32 vcc_lo, v37, v36
	v_cndmask_b32_e32 v36, v39, v38, vcc_lo
	s_delay_alu instid0(VALU_DEP_1) | instskip(NEXT) | instid1(VALU_DEP_1)
	v_add_nc_u32_e32 v36, v36, v37
	v_mul_hi_u32 v37, 0xbc8f1391, v36
	s_delay_alu instid0(VALU_DEP_1) | instskip(NEXT) | instid1(VALU_DEP_1)
	v_lshrrev_b32_e32 v37, 15, v37
	v_mul_u32_u24_e32 v38, 0xadc8, v37
	v_mul_u32_u24_e32 v37, 0xd47, v37
	s_delay_alu instid0(VALU_DEP_1) | instskip(SKIP_2) | instid1(VALU_DEP_3)
	v_dual_sub_nc_u32 v38, v36, v38 :: v_dual_sub_nc_u32 v48, 0, v37
	v_xor_b32_e32 v39, 0x7fffffff, v37
	v_add_nc_u32_e32 v36, -1, v36
	v_mul_lo_u32 v38, 0xbc8f, v38
	s_delay_alu instid0(VALU_DEP_1) | instskip(NEXT) | instid1(VALU_DEP_4)
	v_cmp_lt_u32_e32 vcc_lo, v38, v37
	v_cndmask_b32_e32 v37, v48, v39, vcc_lo
	s_delay_alu instid0(VALU_DEP_1) | instskip(NEXT) | instid1(VALU_DEP_1)
	v_add_nc_u32_e32 v37, v37, v38
	v_mul_hi_u32 v38, 0xbc8f1391, v37
	s_delay_alu instid0(VALU_DEP_1) | instskip(NEXT) | instid1(VALU_DEP_1)
	v_lshrrev_b32_e32 v38, 15, v38
	v_mul_u32_u24_e32 v39, 0xadc8, v38
	v_mul_u32_u24_e32 v38, 0xd47, v38
	s_delay_alu instid0(VALU_DEP_1) | instskip(SKIP_2) | instid1(VALU_DEP_3)
	v_dual_sub_nc_u32 v49, 0, v38 :: v_dual_sub_nc_u32 v39, v37, v39
	v_xor_b32_e32 v48, 0x7fffffff, v38
	v_add_nc_u32_e32 v37, -1, v37
	v_mul_lo_u32 v39, 0xbc8f, v39
	s_delay_alu instid0(VALU_DEP_1) | instskip(NEXT) | instid1(VALU_DEP_4)
	v_cmp_lt_u32_e32 vcc_lo, v39, v38
	v_cndmask_b32_e32 v38, v49, v48, vcc_lo
	s_delay_alu instid0(VALU_DEP_1) | instskip(NEXT) | instid1(VALU_DEP_1)
	v_add_nc_u32_e32 v48, v38, v39
	v_mul_hi_u32 v38, 0xbc8f1391, v48
	s_delay_alu instid0(VALU_DEP_1) | instskip(NEXT) | instid1(VALU_DEP_1)
	v_lshrrev_b32_e32 v38, 15, v38
	v_mul_u32_u24_e32 v39, 0xadc8, v38
	s_delay_alu instid0(VALU_DEP_1) | instskip(NEXT) | instid1(VALU_DEP_1)
	v_sub_nc_u32_e32 v39, v48, v39
	v_mul_lo_u32 v49, 0xbc8f, v39
	v_mul_u32_u24_e32 v39, 0xd47, v38
	v_cvt_f32_u32_e32 v38, v36
	s_delay_alu instid0(VALU_DEP_2) | instskip(SKIP_3) | instid1(VALU_DEP_3)
	v_xor_b32_e32 v36, 0x7fffffff, v39
	v_sub_nc_u32_e32 v55, 0, v39
	v_cmp_lt_u32_e32 vcc_lo, v49, v39
	v_cvt_f32_u32_e32 v39, v37
	v_cndmask_b32_e32 v36, v55, v36, vcc_lo
	s_delay_alu instid0(VALU_DEP_2) | instskip(NEXT) | instid1(VALU_DEP_2)
	v_pk_fma_f32 v[38:39], v[38:39], s[24:25], 0 op_sel_hi:[1,0,0]
	v_dual_add_nc_u32 v37, v36, v49 :: v_dual_add_nc_u32 v36, -1, v48
	s_delay_alu instid0(VALU_DEP_2) | instskip(NEXT) | instid1(VALU_DEP_2)
	v_pk_mul_f32 v[38:39], v[38:39], v[38:39]
	v_add_nc_u32_e32 v49, -1, v37
	s_delay_alu instid0(VALU_DEP_3) | instskip(NEXT) | instid1(VALU_DEP_3)
	v_cvt_f32_u32_e32 v48, v36
	v_add_f32_e32 v36, v38, v39
	s_delay_alu instid0(VALU_DEP_3) | instskip(NEXT) | instid1(VALU_DEP_2)
	v_cvt_f32_u32_e32 v49, v49
	v_cmp_gt_f32_e32 vcc_lo, 0xf800000, v36
	s_delay_alu instid0(VALU_DEP_2) | instskip(SKIP_1) | instid1(VALU_DEP_2)
	v_pk_fma_f32 v[38:39], v[48:49], s[24:25], 0 op_sel_hi:[1,0,0]
	v_mul_f32_e32 v48, 0x4f800000, v36
	v_pk_mul_f32 v[38:39], v[38:39], v[38:39]
	s_delay_alu instid0(VALU_DEP_1) | instskip(NEXT) | instid1(VALU_DEP_1)
	v_add_f32_e32 v38, v38, v39
	v_cmp_gt_f32_e64 s21, 0xf800000, v38
	s_delay_alu instid0(VALU_DEP_4) | instskip(SKIP_1) | instid1(VALU_DEP_1)
	v_cndmask_b32_e32 v36, v36, v48, vcc_lo
	v_mul_f32_e32 v48, 0x4f800000, v38
	v_cndmask_b32_e64 v38, v38, v48, s21
	s_delay_alu instid0(VALU_DEP_3) | instskip(NEXT) | instid1(VALU_DEP_1)
	v_sqrt_f32_e32 v39, v36
	v_sqrt_f32_e32 v64, v38
	s_delay_alu instid0(TRANS32_DEP_2) | instskip(NEXT) | instid1(VALU_DEP_1)
	v_dual_add_nc_u32 v49, -1, v39 :: v_dual_add_nc_u32 v48, 1, v39
	v_fma_f32 v55, -v49, v39, v36
	s_delay_alu instid0(VALU_DEP_1) | instskip(NEXT) | instid1(VALU_DEP_1)
	v_cmp_ge_f32_e64 s22, 0, v55
	v_dual_fma_f32 v65, -v48, v39, v36 :: v_dual_cndmask_b32 v39, v39, v49, s22
	s_delay_alu instid0(VALU_DEP_1) | instskip(NEXT) | instid1(TRANS32_DEP_1)
	v_cmp_lt_f32_e64 s22, 0, v65
	v_add_nc_u32_e32 v49, -1, v64
	s_delay_alu instid0(VALU_DEP_2) | instskip(NEXT) | instid1(VALU_DEP_2)
	v_cndmask_b32_e64 v39, v39, v48, s22
	v_dual_add_nc_u32 v48, 1, v64 :: v_dual_fma_f32 v55, -v49, v64, v38
	s_delay_alu instid0(VALU_DEP_1) | instskip(NEXT) | instid1(VALU_DEP_1)
	v_cmp_ge_f32_e64 s22, 0, v55
	v_cndmask_b32_e64 v49, v64, v49, s22
	s_delay_alu instid0(VALU_DEP_4) | instskip(NEXT) | instid1(VALU_DEP_1)
	v_mul_f32_e32 v65, 0x37800000, v39
	v_cndmask_b32_e32 v39, v39, v65, vcc_lo
	v_cmp_class_f32_e64 vcc_lo, v36, 0x260
	s_delay_alu instid0(VALU_DEP_2) | instskip(NEXT) | instid1(VALU_DEP_1)
	v_cndmask_b32_e32 v36, v39, v36, vcc_lo
	v_cmp_nge_f32_e32 vcc_lo, 1.0, v36
	s_delay_alu instid0(VALU_DEP_3) | instskip(NEXT) | instid1(VALU_DEP_1)
	v_dual_fma_f32 v66, -v48, v64, v38 :: v_dual_cndmask_b32 v21, v54, v21, vcc_lo
	v_cmp_lt_f32_e64 s22, 0, v66
	v_cmp_class_f32_e64 vcc_lo, v38, 0x260
	s_delay_alu instid0(VALU_DEP_2) | instskip(NEXT) | instid1(VALU_DEP_1)
	v_cndmask_b32_e64 v48, v49, v48, s22
	v_mul_f32_e32 v39, 0x37800000, v48
	s_delay_alu instid0(VALU_DEP_1) | instskip(NEXT) | instid1(VALU_DEP_1)
	v_dual_cndmask_b32 v36, v48, v39, s21 :: v_dual_add_f32 v39, 1.0, v21
	v_cndmask_b32_e32 v36, v36, v38, vcc_lo
	s_delay_alu instid0(VALU_DEP_1) | instskip(NEXT) | instid1(VALU_DEP_3)
	v_cmp_nge_f32_e32 vcc_lo, 1.0, v36
	v_cndmask_b32_e32 v21, v39, v21, vcc_lo
	s_cbranch_scc1 .LBB27_1118
; %bb.1119:
	s_delay_alu instid0(VALU_DEP_1) | instskip(NEXT) | instid1(VALU_DEP_1)
	v_mul_f32_e32 v21, 4.0, v21
	v_div_scale_f32 v36, null, 0x459c4000, 0x459c4000, v21
	s_delay_alu instid0(VALU_DEP_1) | instskip(SKIP_1) | instid1(TRANS32_DEP_1)
	v_rcp_f32_e32 v37, v36
	v_nop
	v_fma_f32 v38, -v36, v37, 1.0
	s_delay_alu instid0(VALU_DEP_1) | instskip(SKIP_1) | instid1(VALU_DEP_1)
	v_fmac_f32_e32 v37, v38, v37
	v_div_scale_f32 v38, vcc_lo, v21, 0x459c4000, v21
	v_mul_f32_e32 v39, v38, v37
	s_delay_alu instid0(VALU_DEP_1) | instskip(NEXT) | instid1(VALU_DEP_1)
	v_fma_f32 v48, -v36, v39, v38
	v_fmac_f32_e32 v39, v48, v37
	s_delay_alu instid0(VALU_DEP_1) | instskip(NEXT) | instid1(VALU_DEP_1)
	v_fma_f32 v36, -v36, v39, v38
	v_div_fmas_f32 v36, v36, v37, v39
	s_delay_alu instid0(VALU_DEP_1)
	v_div_fixup_f32 v21, v36, 0x459c4000, v21
.LBB27_1120:
	s_or_b32 exec_lo, exec_lo, s42
	v_add_nc_u32_e32 v36, 0x1600, v50
	s_delay_alu instid0(VALU_DEP_1)
	v_cmp_lt_u32_e64 s21, v36, v52
	s_and_saveexec_b32 s42, s21
	s_cbranch_execz .LBB27_1130
; %bb.1121:
	v_dual_mov_b32 v37, 1 :: v_dual_add_nc_u32 v22, v53, v36
	s_mov_b32 s23, 0
	s_mov_b32 s43, exec_lo
	s_delay_alu instid0(VALU_DEP_1) | instskip(NEXT) | instid1(VALU_DEP_1)
	v_mul_lo_u32 v36, 0x1388, v22
	v_cmpx_ne_u32_e32 0, v36
	s_cbranch_execz .LBB27_1127
; %bb.1122:
	v_mov_b32_e32 v37, 0
	v_mov_b64_e32 v[48:49], 1
	s_mov_b64 s[40:41], 0xbc8f
	s_mov_b64 s[24:25], 0xfffffffd
	;; [unrolled: 1-line block ×3, first 2 shown]
	v_mov_b64_e32 v[38:39], v[36:37]
	s_mov_b64 s[28:29], 0x80000001
	s_mov_b32 s46, 0
	s_branch .LBB27_1124
.LBB27_1123:                            ;   in Loop: Header=BB27_1124 Depth=1
	s_or_b32 exec_lo, exec_lo, s22
	s_mul_u64 s[40:41], s[40:41], s[40:41]
	s_mov_b32 s57, s23
	s_and_b64 s[58:59], s[40:41], s[24:25]
	s_mov_b32 s22, s41
	s_mul_u64 s[60:61], s[58:59], 3
	s_mul_u64 s[72:73], s[22:23], 3
	s_mov_b32 s56, s61
	s_mul_u64 s[58:59], s[58:59], s[28:29]
	s_add_nc_u64 s[56:57], s[72:73], s[56:57]
	v_lshrrev_b64 v[54:55], 1, v[38:39]
	s_and_b64 s[72:73], s[56:57], s[26:27]
	s_mov_b32 s61, s23
	s_add_nc_u64 s[58:59], s[58:59], s[72:73]
	s_mov_b32 s75, s23
	s_mov_b32 s60, s57
	;; [unrolled: 1-line block ×3, first 2 shown]
	s_mul_u64 s[58:59], s[22:23], s[28:29]
	s_add_nc_u64 s[56:57], s[60:61], s[74:75]
	v_cmp_gt_u64_e32 vcc_lo, 2, v[38:39]
	s_add_nc_u64 s[56:57], s[58:59], s[56:57]
	v_mov_b64_e32 v[38:39], v[54:55]
	s_lshr_b64 s[56:57], s[56:57], 30
	s_delay_alu instid0(SALU_CYCLE_1)
	s_mul_u64 s[56:57], s[56:57], 0x7fffffff
	s_or_b32 s46, vcc_lo, s46
	s_sub_nc_u64 s[40:41], s[40:41], s[56:57]
	s_and_not1_b32 exec_lo, exec_lo, s46
	s_cbranch_execz .LBB27_1126
.LBB27_1124:                            ; =>This Inner Loop Header: Depth=1
	s_delay_alu instid0(VALU_DEP_1) | instskip(SKIP_1) | instid1(VALU_DEP_1)
	v_and_b32_e32 v22, 1, v38
	s_mov_b32 s22, exec_lo
	v_cmpx_eq_u32_e32 1, v22
	s_cbranch_execz .LBB27_1123
; %bb.1125:                             ;   in Loop: Header=BB27_1124 Depth=1
	v_mul_u64_e32 v[48:49], s[40:41], v[48:49]
	s_delay_alu instid0(VALU_DEP_1) | instskip(NEXT) | instid1(VALU_DEP_1)
	v_mov_b32_e32 v36, v48
	v_mul_u64_e32 v[54:55], 5, v[36:37]
	s_delay_alu instid0(VALU_DEP_1) | instskip(NEXT) | instid1(VALU_DEP_1)
	v_mov_b32_e32 v36, v55
	v_mad_nc_u64_u32 v[54:55], v49, 5, v[36:37]
	s_delay_alu instid0(VALU_DEP_1) | instskip(NEXT) | instid1(VALU_DEP_1)
	v_dual_mov_b32 v36, v55 :: v_dual_mov_b32 v55, v37
	v_mad_nc_u64_u32 v[54:55], v48, 2, v[54:55]
	s_delay_alu instid0(VALU_DEP_1) | instskip(NEXT) | instid1(VALU_DEP_1)
	v_dual_mov_b32 v54, v55 :: v_dual_mov_b32 v55, v37
	v_add_nc_u64_e32 v[54:55], v[36:37], v[54:55]
	s_delay_alu instid0(VALU_DEP_1) | instskip(NEXT) | instid1(VALU_DEP_1)
	v_mad_nc_u64_u32 v[54:55], v49, 2, v[54:55]
	v_sub_nc_u64_e32 v[64:65], v[48:49], v[54:55]
	s_delay_alu instid0(VALU_DEP_1) | instskip(NEXT) | instid1(VALU_DEP_1)
	v_lshrrev_b64 v[64:65], 1, v[64:65]
	v_add_nc_u64_e32 v[54:55], v[64:65], v[54:55]
	s_delay_alu instid0(VALU_DEP_1) | instskip(NEXT) | instid1(VALU_DEP_1)
	v_lshrrev_b64 v[54:55], 30, v[54:55]
	v_mul_u64_e32 v[54:55], 0x7fffffff, v[54:55]
	s_delay_alu instid0(VALU_DEP_1)
	v_sub_nc_u64_e32 v[48:49], v[48:49], v[54:55]
	s_branch .LBB27_1123
.LBB27_1126:
	s_or_b32 exec_lo, exec_lo, s46
	v_add_min_u32_e64 v22, 0x80000001, v48, v48
	s_delay_alu instid0(VALU_DEP_1)
	v_add_min_u32_e64 v37, 0x80000001, v22, v22
.LBB27_1127:
	s_or_b32 exec_lo, exec_lo, s43
	v_mov_b32_e32 v22, 0
	s_movk_i32 s25, 0x1388
	s_brev_b32 s24, 12
.LBB27_1128:                            ; =>This Inner Loop Header: Depth=1
	v_mul_hi_u32 v36, 0xbc8f1391, v37
	s_delay_alu instid0(VALU_DEP_1) | instskip(NEXT) | instid1(VALU_DEP_1)
	v_dual_add_f32 v54, 1.0, v22 :: v_dual_lshrrev_b32 v36, 15, v36
	v_mul_u32_u24_e32 v38, 0xadc8, v36
	s_delay_alu instid0(VALU_DEP_1) | instskip(SKIP_1) | instid1(VALU_DEP_2)
	v_sub_nc_u32_e32 v37, v37, v38
	v_mul_u32_u24_e32 v36, 0xd47, v36
	v_mul_lo_u32 v37, 0xbc8f, v37
	s_delay_alu instid0(VALU_DEP_2) | instskip(SKIP_1) | instid1(VALU_DEP_3)
	v_xor_b32_e32 v38, 0x7fffffff, v36
	v_sub_nc_u32_e32 v39, 0, v36
	v_cmp_lt_u32_e32 vcc_lo, v37, v36
	s_delay_alu instid0(VALU_DEP_2) | instskip(NEXT) | instid1(VALU_DEP_1)
	v_cndmask_b32_e32 v36, v39, v38, vcc_lo
	v_add_nc_u32_e32 v36, v36, v37
	s_delay_alu instid0(VALU_DEP_1) | instskip(NEXT) | instid1(VALU_DEP_1)
	v_mul_hi_u32 v37, 0xbc8f1391, v36
	v_lshrrev_b32_e32 v37, 15, v37
	s_delay_alu instid0(VALU_DEP_1) | instskip(SKIP_1) | instid1(VALU_DEP_1)
	v_mul_u32_u24_e32 v38, 0xadc8, v37
	v_mul_u32_u24_e32 v37, 0xd47, v37
	v_dual_sub_nc_u32 v38, v36, v38 :: v_dual_sub_nc_u32 v48, 0, v37
	v_xor_b32_e32 v39, 0x7fffffff, v37
	v_add_nc_u32_e32 v36, -1, v36
	s_delay_alu instid0(VALU_DEP_3) | instskip(NEXT) | instid1(VALU_DEP_1)
	v_mul_lo_u32 v38, 0xbc8f, v38
	v_cmp_lt_u32_e32 vcc_lo, v38, v37
	s_delay_alu instid0(VALU_DEP_4) | instskip(NEXT) | instid1(VALU_DEP_1)
	v_cndmask_b32_e32 v37, v48, v39, vcc_lo
	v_add_nc_u32_e32 v37, v37, v38
	s_delay_alu instid0(VALU_DEP_1) | instskip(NEXT) | instid1(VALU_DEP_1)
	v_mul_hi_u32 v38, 0xbc8f1391, v37
	v_lshrrev_b32_e32 v38, 15, v38
	s_delay_alu instid0(VALU_DEP_1) | instskip(SKIP_1) | instid1(VALU_DEP_1)
	v_mul_u32_u24_e32 v39, 0xadc8, v38
	v_mul_u32_u24_e32 v38, 0xd47, v38
	v_dual_sub_nc_u32 v49, 0, v38 :: v_dual_sub_nc_u32 v39, v37, v39
	v_xor_b32_e32 v48, 0x7fffffff, v38
	v_add_nc_u32_e32 v37, -1, v37
	s_delay_alu instid0(VALU_DEP_3) | instskip(NEXT) | instid1(VALU_DEP_1)
	v_mul_lo_u32 v39, 0xbc8f, v39
	v_cmp_lt_u32_e32 vcc_lo, v39, v38
	s_delay_alu instid0(VALU_DEP_4) | instskip(NEXT) | instid1(VALU_DEP_1)
	v_cndmask_b32_e32 v38, v49, v48, vcc_lo
	v_add_nc_u32_e32 v48, v38, v39
	s_delay_alu instid0(VALU_DEP_1) | instskip(NEXT) | instid1(VALU_DEP_1)
	v_mul_hi_u32 v38, 0xbc8f1391, v48
	v_lshrrev_b32_e32 v38, 15, v38
	s_delay_alu instid0(VALU_DEP_1) | instskip(NEXT) | instid1(VALU_DEP_1)
	v_mul_u32_u24_e32 v39, 0xadc8, v38
	v_sub_nc_u32_e32 v39, v48, v39
	s_delay_alu instid0(VALU_DEP_1) | instskip(SKIP_2) | instid1(VALU_DEP_2)
	v_mul_lo_u32 v49, 0xbc8f, v39
	v_mul_u32_u24_e32 v39, 0xd47, v38
	v_cvt_f32_u32_e32 v38, v36
	v_xor_b32_e32 v36, 0x7fffffff, v39
	v_sub_nc_u32_e32 v55, 0, v39
	v_cmp_lt_u32_e32 vcc_lo, v49, v39
	v_cvt_f32_u32_e32 v39, v37
	s_delay_alu instid0(VALU_DEP_3) | instskip(NEXT) | instid1(VALU_DEP_2)
	v_cndmask_b32_e32 v36, v55, v36, vcc_lo
	v_pk_fma_f32 v[38:39], v[38:39], s[24:25], 0 op_sel_hi:[1,0,0]
	s_delay_alu instid0(VALU_DEP_2) | instskip(NEXT) | instid1(VALU_DEP_2)
	v_dual_add_nc_u32 v37, v36, v49 :: v_dual_add_nc_u32 v36, -1, v48
	v_pk_mul_f32 v[38:39], v[38:39], v[38:39]
	s_delay_alu instid0(VALU_DEP_2) | instskip(NEXT) | instid1(VALU_DEP_3)
	v_add_nc_u32_e32 v49, -1, v37
	v_cvt_f32_u32_e32 v48, v36
	s_delay_alu instid0(VALU_DEP_3) | instskip(NEXT) | instid1(VALU_DEP_3)
	v_add_f32_e32 v36, v38, v39
	v_cvt_f32_u32_e32 v49, v49
	s_delay_alu instid0(VALU_DEP_2) | instskip(NEXT) | instid1(VALU_DEP_2)
	v_cmp_gt_f32_e32 vcc_lo, 0xf800000, v36
	v_pk_fma_f32 v[38:39], v[48:49], s[24:25], 0 op_sel_hi:[1,0,0]
	v_mul_f32_e32 v48, 0x4f800000, v36
	s_add_co_i32 s25, s25, -2
	s_delay_alu instid0(SALU_CYCLE_1) | instskip(NEXT) | instid1(VALU_DEP_2)
	s_cmp_lg_u32 s25, 0
	v_pk_mul_f32 v[38:39], v[38:39], v[38:39]
	s_delay_alu instid0(VALU_DEP_1) | instskip(NEXT) | instid1(VALU_DEP_1)
	v_add_f32_e32 v38, v38, v39
	v_cmp_gt_f32_e64 s22, 0xf800000, v38
	v_cndmask_b32_e32 v36, v36, v48, vcc_lo
	v_mul_f32_e32 v48, 0x4f800000, v38
	s_delay_alu instid0(VALU_DEP_1) | instskip(NEXT) | instid1(VALU_DEP_3)
	v_cndmask_b32_e64 v38, v38, v48, s22
	v_sqrt_f32_e32 v39, v36
	s_delay_alu instid0(VALU_DEP_1) | instskip(NEXT) | instid1(TRANS32_DEP_2)
	v_sqrt_f32_e32 v64, v38
	v_dual_add_nc_u32 v49, -1, v39 :: v_dual_add_nc_u32 v48, 1, v39
	s_delay_alu instid0(VALU_DEP_1) | instskip(NEXT) | instid1(VALU_DEP_1)
	v_fma_f32 v55, -v49, v39, v36
	v_cmp_ge_f32_e64 s23, 0, v55
	s_delay_alu instid0(VALU_DEP_1) | instskip(NEXT) | instid1(VALU_DEP_1)
	v_dual_fma_f32 v65, -v48, v39, v36 :: v_dual_cndmask_b32 v39, v39, v49, s23
	v_cmp_lt_f32_e64 s23, 0, v65
	s_delay_alu instid0(TRANS32_DEP_1) | instskip(NEXT) | instid1(VALU_DEP_2)
	v_add_nc_u32_e32 v49, -1, v64
	v_cndmask_b32_e64 v39, v39, v48, s23
	s_delay_alu instid0(VALU_DEP_2) | instskip(NEXT) | instid1(VALU_DEP_1)
	v_dual_add_nc_u32 v48, 1, v64 :: v_dual_fma_f32 v55, -v49, v64, v38
	v_cmp_ge_f32_e64 s23, 0, v55
	s_delay_alu instid0(VALU_DEP_1) | instskip(NEXT) | instid1(VALU_DEP_4)
	v_cndmask_b32_e64 v49, v64, v49, s23
	v_mul_f32_e32 v65, 0x37800000, v39
	s_delay_alu instid0(VALU_DEP_1) | instskip(SKIP_1) | instid1(VALU_DEP_2)
	v_cndmask_b32_e32 v39, v39, v65, vcc_lo
	v_cmp_class_f32_e64 vcc_lo, v36, 0x260
	v_cndmask_b32_e32 v36, v39, v36, vcc_lo
	s_delay_alu instid0(VALU_DEP_1) | instskip(NEXT) | instid1(VALU_DEP_3)
	v_cmp_nge_f32_e32 vcc_lo, 1.0, v36
	v_dual_fma_f32 v66, -v48, v64, v38 :: v_dual_cndmask_b32 v22, v54, v22, vcc_lo
	s_delay_alu instid0(VALU_DEP_1) | instskip(SKIP_1) | instid1(VALU_DEP_2)
	v_cmp_lt_f32_e64 s23, 0, v66
	v_cmp_class_f32_e64 vcc_lo, v38, 0x260
	v_cndmask_b32_e64 v48, v49, v48, s23
	s_delay_alu instid0(VALU_DEP_1) | instskip(NEXT) | instid1(VALU_DEP_1)
	v_mul_f32_e32 v39, 0x37800000, v48
	v_dual_cndmask_b32 v36, v48, v39, s22 :: v_dual_add_f32 v39, 1.0, v22
	s_delay_alu instid0(VALU_DEP_1) | instskip(NEXT) | instid1(VALU_DEP_1)
	v_cndmask_b32_e32 v36, v36, v38, vcc_lo
	v_cmp_nge_f32_e32 vcc_lo, 1.0, v36
	s_delay_alu instid0(VALU_DEP_3)
	v_cndmask_b32_e32 v22, v39, v22, vcc_lo
	s_cbranch_scc1 .LBB27_1128
; %bb.1129:
	s_delay_alu instid0(VALU_DEP_1) | instskip(NEXT) | instid1(VALU_DEP_1)
	v_mul_f32_e32 v22, 4.0, v22
	v_div_scale_f32 v36, null, 0x459c4000, 0x459c4000, v22
	s_delay_alu instid0(VALU_DEP_1) | instskip(SKIP_1) | instid1(TRANS32_DEP_1)
	v_rcp_f32_e32 v37, v36
	v_nop
	v_fma_f32 v38, -v36, v37, 1.0
	s_delay_alu instid0(VALU_DEP_1) | instskip(SKIP_1) | instid1(VALU_DEP_1)
	v_fmac_f32_e32 v37, v38, v37
	v_div_scale_f32 v38, vcc_lo, v22, 0x459c4000, v22
	v_mul_f32_e32 v39, v38, v37
	s_delay_alu instid0(VALU_DEP_1) | instskip(NEXT) | instid1(VALU_DEP_1)
	v_fma_f32 v48, -v36, v39, v38
	v_fmac_f32_e32 v39, v48, v37
	s_delay_alu instid0(VALU_DEP_1) | instskip(NEXT) | instid1(VALU_DEP_1)
	v_fma_f32 v36, -v36, v39, v38
	v_div_fmas_f32 v36, v36, v37, v39
	s_delay_alu instid0(VALU_DEP_1)
	v_div_fixup_f32 v22, v36, 0x459c4000, v22
.LBB27_1130:
	s_or_b32 exec_lo, exec_lo, s42
	v_add_nc_u32_e32 v36, 0x1700, v50
	s_delay_alu instid0(VALU_DEP_1)
	v_cmp_lt_u32_e64 s22, v36, v52
	s_and_saveexec_b32 s46, s22
	s_cbranch_execz .LBB27_1140
; %bb.1131:
	v_dual_add_nc_u32 v23, v53, v36 :: v_dual_mov_b32 v37, 1
	s_mov_b32 s25, 0
	s_mov_b32 s23, exec_lo
	s_delay_alu instid0(VALU_DEP_1) | instskip(NEXT) | instid1(VALU_DEP_1)
	v_mul_lo_u32 v36, 0x1388, v23
	v_cmpx_ne_u32_e32 0, v36
	s_cbranch_execz .LBB27_1137
; %bb.1132:
	v_mov_b32_e32 v37, 0
	v_mov_b64_e32 v[48:49], 1
	s_mov_b64 s[42:43], 0xbc8f
	s_mov_b64 s[26:27], 0xfffffffd
	s_mov_b64 s[28:29], 0xffffffff
	v_mov_b64_e32 v[38:39], v[36:37]
	s_mov_b64 s[40:41], 0x80000001
	s_mov_b32 s47, 0
	s_branch .LBB27_1134
.LBB27_1133:                            ;   in Loop: Header=BB27_1134 Depth=1
	s_or_b32 exec_lo, exec_lo, s24
	s_mul_u64 s[42:43], s[42:43], s[42:43]
	s_mov_b32 s57, s25
	s_and_b64 s[58:59], s[42:43], s[26:27]
	s_mov_b32 s24, s43
	s_mul_u64 s[60:61], s[58:59], 3
	s_mul_u64 s[72:73], s[24:25], 3
	s_mov_b32 s56, s61
	s_mul_u64 s[58:59], s[58:59], s[40:41]
	s_add_nc_u64 s[56:57], s[72:73], s[56:57]
	v_lshrrev_b64 v[54:55], 1, v[38:39]
	s_and_b64 s[72:73], s[56:57], s[28:29]
	s_mov_b32 s61, s25
	s_add_nc_u64 s[58:59], s[58:59], s[72:73]
	s_mov_b32 s75, s25
	s_mov_b32 s60, s57
	;; [unrolled: 1-line block ×3, first 2 shown]
	s_mul_u64 s[58:59], s[24:25], s[40:41]
	s_add_nc_u64 s[56:57], s[60:61], s[74:75]
	v_cmp_gt_u64_e32 vcc_lo, 2, v[38:39]
	s_add_nc_u64 s[56:57], s[58:59], s[56:57]
	v_mov_b64_e32 v[38:39], v[54:55]
	s_lshr_b64 s[56:57], s[56:57], 30
	s_delay_alu instid0(SALU_CYCLE_1)
	s_mul_u64 s[56:57], s[56:57], 0x7fffffff
	s_or_b32 s47, vcc_lo, s47
	s_sub_nc_u64 s[42:43], s[42:43], s[56:57]
	s_and_not1_b32 exec_lo, exec_lo, s47
	s_cbranch_execz .LBB27_1136
.LBB27_1134:                            ; =>This Inner Loop Header: Depth=1
	s_delay_alu instid0(VALU_DEP_1) | instskip(SKIP_1) | instid1(VALU_DEP_1)
	v_and_b32_e32 v23, 1, v38
	s_mov_b32 s24, exec_lo
	v_cmpx_eq_u32_e32 1, v23
	s_cbranch_execz .LBB27_1133
; %bb.1135:                             ;   in Loop: Header=BB27_1134 Depth=1
	v_mul_u64_e32 v[48:49], s[42:43], v[48:49]
	s_delay_alu instid0(VALU_DEP_1) | instskip(NEXT) | instid1(VALU_DEP_1)
	v_mov_b32_e32 v36, v48
	v_mul_u64_e32 v[54:55], 5, v[36:37]
	s_delay_alu instid0(VALU_DEP_1) | instskip(NEXT) | instid1(VALU_DEP_1)
	v_mov_b32_e32 v36, v55
	v_mad_nc_u64_u32 v[54:55], v49, 5, v[36:37]
	s_delay_alu instid0(VALU_DEP_1) | instskip(NEXT) | instid1(VALU_DEP_1)
	v_dual_mov_b32 v36, v55 :: v_dual_mov_b32 v55, v37
	v_mad_nc_u64_u32 v[54:55], v48, 2, v[54:55]
	s_delay_alu instid0(VALU_DEP_1) | instskip(NEXT) | instid1(VALU_DEP_1)
	v_dual_mov_b32 v54, v55 :: v_dual_mov_b32 v55, v37
	v_add_nc_u64_e32 v[54:55], v[36:37], v[54:55]
	s_delay_alu instid0(VALU_DEP_1) | instskip(NEXT) | instid1(VALU_DEP_1)
	v_mad_nc_u64_u32 v[54:55], v49, 2, v[54:55]
	v_sub_nc_u64_e32 v[64:65], v[48:49], v[54:55]
	s_delay_alu instid0(VALU_DEP_1) | instskip(NEXT) | instid1(VALU_DEP_1)
	v_lshrrev_b64 v[64:65], 1, v[64:65]
	v_add_nc_u64_e32 v[54:55], v[64:65], v[54:55]
	s_delay_alu instid0(VALU_DEP_1) | instskip(NEXT) | instid1(VALU_DEP_1)
	v_lshrrev_b64 v[54:55], 30, v[54:55]
	v_mul_u64_e32 v[54:55], 0x7fffffff, v[54:55]
	s_delay_alu instid0(VALU_DEP_1)
	v_sub_nc_u64_e32 v[48:49], v[48:49], v[54:55]
	s_branch .LBB27_1133
.LBB27_1136:
	s_or_b32 exec_lo, exec_lo, s47
	v_add_min_u32_e64 v23, 0x80000001, v48, v48
	s_delay_alu instid0(VALU_DEP_1)
	v_add_min_u32_e64 v37, 0x80000001, v23, v23
.LBB27_1137:
	s_or_b32 exec_lo, exec_lo, s23
	v_mov_b32_e32 v23, 0
	s_movk_i32 s25, 0x1388
	s_brev_b32 s26, 12
.LBB27_1138:                            ; =>This Inner Loop Header: Depth=1
	v_mul_hi_u32 v36, 0xbc8f1391, v37
	s_add_co_i32 s25, s25, -2
	s_delay_alu instid0(VALU_DEP_2) | instskip(SKIP_1) | instid1(VALU_DEP_2)
	v_add_f32_e32 v54, 1.0, v23
	s_cmp_lg_u32 s25, 0
	v_lshrrev_b32_e32 v36, 15, v36
	s_delay_alu instid0(VALU_DEP_1) | instskip(NEXT) | instid1(VALU_DEP_1)
	v_mul_u32_u24_e32 v38, 0xadc8, v36
	v_sub_nc_u32_e32 v37, v37, v38
	v_mul_u32_u24_e32 v36, 0xd47, v36
	s_delay_alu instid0(VALU_DEP_2) | instskip(NEXT) | instid1(VALU_DEP_2)
	v_mul_lo_u32 v37, 0xbc8f, v37
	v_xor_b32_e32 v38, 0x7fffffff, v36
	v_sub_nc_u32_e32 v39, 0, v36
	s_delay_alu instid0(VALU_DEP_3) | instskip(NEXT) | instid1(VALU_DEP_2)
	v_cmp_lt_u32_e32 vcc_lo, v37, v36
	v_cndmask_b32_e32 v36, v39, v38, vcc_lo
	s_delay_alu instid0(VALU_DEP_1) | instskip(NEXT) | instid1(VALU_DEP_1)
	v_add_nc_u32_e32 v36, v36, v37
	v_mul_hi_u32 v37, 0xbc8f1391, v36
	s_delay_alu instid0(VALU_DEP_1) | instskip(NEXT) | instid1(VALU_DEP_1)
	v_lshrrev_b32_e32 v37, 15, v37
	v_mul_u32_u24_e32 v38, 0xadc8, v37
	v_mul_u32_u24_e32 v37, 0xd47, v37
	s_delay_alu instid0(VALU_DEP_1) | instskip(SKIP_2) | instid1(VALU_DEP_3)
	v_dual_sub_nc_u32 v38, v36, v38 :: v_dual_sub_nc_u32 v48, 0, v37
	v_xor_b32_e32 v39, 0x7fffffff, v37
	v_add_nc_u32_e32 v36, -1, v36
	v_mul_lo_u32 v38, 0xbc8f, v38
	s_delay_alu instid0(VALU_DEP_1) | instskip(NEXT) | instid1(VALU_DEP_4)
	v_cmp_lt_u32_e32 vcc_lo, v38, v37
	v_cndmask_b32_e32 v37, v48, v39, vcc_lo
	s_delay_alu instid0(VALU_DEP_1) | instskip(NEXT) | instid1(VALU_DEP_1)
	v_add_nc_u32_e32 v37, v37, v38
	v_mul_hi_u32 v38, 0xbc8f1391, v37
	s_delay_alu instid0(VALU_DEP_1) | instskip(NEXT) | instid1(VALU_DEP_1)
	v_lshrrev_b32_e32 v38, 15, v38
	v_mul_u32_u24_e32 v39, 0xadc8, v38
	v_mul_u32_u24_e32 v38, 0xd47, v38
	s_delay_alu instid0(VALU_DEP_1) | instskip(SKIP_2) | instid1(VALU_DEP_3)
	v_dual_sub_nc_u32 v49, 0, v38 :: v_dual_sub_nc_u32 v39, v37, v39
	v_xor_b32_e32 v48, 0x7fffffff, v38
	v_add_nc_u32_e32 v37, -1, v37
	v_mul_lo_u32 v39, 0xbc8f, v39
	s_delay_alu instid0(VALU_DEP_1) | instskip(NEXT) | instid1(VALU_DEP_4)
	v_cmp_lt_u32_e32 vcc_lo, v39, v38
	v_cndmask_b32_e32 v38, v49, v48, vcc_lo
	s_delay_alu instid0(VALU_DEP_1) | instskip(NEXT) | instid1(VALU_DEP_1)
	v_add_nc_u32_e32 v48, v38, v39
	v_mul_hi_u32 v38, 0xbc8f1391, v48
	s_delay_alu instid0(VALU_DEP_1) | instskip(NEXT) | instid1(VALU_DEP_1)
	v_lshrrev_b32_e32 v38, 15, v38
	v_mul_u32_u24_e32 v39, 0xadc8, v38
	s_delay_alu instid0(VALU_DEP_1) | instskip(NEXT) | instid1(VALU_DEP_1)
	v_sub_nc_u32_e32 v39, v48, v39
	v_mul_lo_u32 v49, 0xbc8f, v39
	v_mul_u32_u24_e32 v39, 0xd47, v38
	v_cvt_f32_u32_e32 v38, v36
	s_delay_alu instid0(VALU_DEP_2) | instskip(SKIP_3) | instid1(VALU_DEP_3)
	v_xor_b32_e32 v36, 0x7fffffff, v39
	v_sub_nc_u32_e32 v55, 0, v39
	v_cmp_lt_u32_e32 vcc_lo, v49, v39
	v_cvt_f32_u32_e32 v39, v37
	v_cndmask_b32_e32 v36, v55, v36, vcc_lo
	s_delay_alu instid0(VALU_DEP_2) | instskip(NEXT) | instid1(VALU_DEP_2)
	v_pk_fma_f32 v[38:39], v[38:39], s[26:27], 0 op_sel_hi:[1,0,0]
	v_dual_add_nc_u32 v37, v36, v49 :: v_dual_add_nc_u32 v36, -1, v48
	s_delay_alu instid0(VALU_DEP_2) | instskip(NEXT) | instid1(VALU_DEP_2)
	v_pk_mul_f32 v[38:39], v[38:39], v[38:39]
	v_add_nc_u32_e32 v49, -1, v37
	s_delay_alu instid0(VALU_DEP_3) | instskip(NEXT) | instid1(VALU_DEP_3)
	v_cvt_f32_u32_e32 v48, v36
	v_add_f32_e32 v36, v38, v39
	s_delay_alu instid0(VALU_DEP_3) | instskip(NEXT) | instid1(VALU_DEP_2)
	v_cvt_f32_u32_e32 v49, v49
	v_cmp_gt_f32_e32 vcc_lo, 0xf800000, v36
	s_delay_alu instid0(VALU_DEP_2) | instskip(SKIP_1) | instid1(VALU_DEP_2)
	v_pk_fma_f32 v[38:39], v[48:49], s[26:27], 0 op_sel_hi:[1,0,0]
	v_mul_f32_e32 v48, 0x4f800000, v36
	v_pk_mul_f32 v[38:39], v[38:39], v[38:39]
	s_delay_alu instid0(VALU_DEP_1) | instskip(NEXT) | instid1(VALU_DEP_1)
	v_add_f32_e32 v38, v38, v39
	v_cmp_gt_f32_e64 s23, 0xf800000, v38
	s_delay_alu instid0(VALU_DEP_4) | instskip(SKIP_1) | instid1(VALU_DEP_1)
	v_cndmask_b32_e32 v36, v36, v48, vcc_lo
	v_mul_f32_e32 v48, 0x4f800000, v38
	v_cndmask_b32_e64 v38, v38, v48, s23
	s_delay_alu instid0(VALU_DEP_3) | instskip(NEXT) | instid1(VALU_DEP_1)
	v_sqrt_f32_e32 v39, v36
	v_sqrt_f32_e32 v64, v38
	s_delay_alu instid0(TRANS32_DEP_2) | instskip(NEXT) | instid1(VALU_DEP_1)
	v_dual_add_nc_u32 v49, -1, v39 :: v_dual_add_nc_u32 v48, 1, v39
	v_fma_f32 v55, -v49, v39, v36
	s_delay_alu instid0(VALU_DEP_1) | instskip(NEXT) | instid1(VALU_DEP_1)
	v_cmp_ge_f32_e64 s24, 0, v55
	v_dual_fma_f32 v65, -v48, v39, v36 :: v_dual_cndmask_b32 v39, v39, v49, s24
	s_delay_alu instid0(VALU_DEP_1) | instskip(NEXT) | instid1(TRANS32_DEP_1)
	v_cmp_lt_f32_e64 s24, 0, v65
	v_add_nc_u32_e32 v49, -1, v64
	s_delay_alu instid0(VALU_DEP_2) | instskip(NEXT) | instid1(VALU_DEP_2)
	v_cndmask_b32_e64 v39, v39, v48, s24
	v_dual_add_nc_u32 v48, 1, v64 :: v_dual_fma_f32 v55, -v49, v64, v38
	s_delay_alu instid0(VALU_DEP_1) | instskip(NEXT) | instid1(VALU_DEP_1)
	v_cmp_ge_f32_e64 s24, 0, v55
	v_cndmask_b32_e64 v49, v64, v49, s24
	s_delay_alu instid0(VALU_DEP_4) | instskip(NEXT) | instid1(VALU_DEP_1)
	v_mul_f32_e32 v65, 0x37800000, v39
	v_cndmask_b32_e32 v39, v39, v65, vcc_lo
	v_cmp_class_f32_e64 vcc_lo, v36, 0x260
	s_delay_alu instid0(VALU_DEP_2) | instskip(NEXT) | instid1(VALU_DEP_1)
	v_cndmask_b32_e32 v36, v39, v36, vcc_lo
	v_cmp_nge_f32_e32 vcc_lo, 1.0, v36
	s_delay_alu instid0(VALU_DEP_3) | instskip(NEXT) | instid1(VALU_DEP_1)
	v_dual_fma_f32 v66, -v48, v64, v38 :: v_dual_cndmask_b32 v23, v54, v23, vcc_lo
	v_cmp_lt_f32_e64 s24, 0, v66
	v_cmp_class_f32_e64 vcc_lo, v38, 0x260
	s_delay_alu instid0(VALU_DEP_2) | instskip(NEXT) | instid1(VALU_DEP_1)
	v_cndmask_b32_e64 v48, v49, v48, s24
	v_mul_f32_e32 v39, 0x37800000, v48
	s_delay_alu instid0(VALU_DEP_1) | instskip(NEXT) | instid1(VALU_DEP_1)
	v_cndmask_b32_e64 v36, v48, v39, s23
	v_dual_add_f32 v39, 1.0, v23 :: v_dual_cndmask_b32 v36, v36, v38
	s_delay_alu instid0(VALU_DEP_1) | instskip(NEXT) | instid1(VALU_DEP_2)
	v_cmp_nge_f32_e32 vcc_lo, 1.0, v36
	v_cndmask_b32_e32 v23, v39, v23, vcc_lo
	s_cbranch_scc1 .LBB27_1138
; %bb.1139:
	s_delay_alu instid0(VALU_DEP_1) | instskip(NEXT) | instid1(VALU_DEP_1)
	v_mul_f32_e32 v23, 4.0, v23
	v_div_scale_f32 v36, null, 0x459c4000, 0x459c4000, v23
	s_delay_alu instid0(VALU_DEP_1) | instskip(SKIP_1) | instid1(TRANS32_DEP_1)
	v_rcp_f32_e32 v37, v36
	v_nop
	v_fma_f32 v38, -v36, v37, 1.0
	s_delay_alu instid0(VALU_DEP_1) | instskip(SKIP_1) | instid1(VALU_DEP_1)
	v_fmac_f32_e32 v37, v38, v37
	v_div_scale_f32 v38, vcc_lo, v23, 0x459c4000, v23
	v_mul_f32_e32 v39, v38, v37
	s_delay_alu instid0(VALU_DEP_1) | instskip(NEXT) | instid1(VALU_DEP_1)
	v_fma_f32 v48, -v36, v39, v38
	v_fmac_f32_e32 v39, v48, v37
	s_delay_alu instid0(VALU_DEP_1) | instskip(NEXT) | instid1(VALU_DEP_1)
	v_fma_f32 v36, -v36, v39, v38
	v_div_fmas_f32 v36, v36, v37, v39
	s_delay_alu instid0(VALU_DEP_1)
	v_div_fixup_f32 v23, v36, 0x459c4000, v23
.LBB27_1140:
	s_or_b32 exec_lo, exec_lo, s46
	v_or_b32_e32 v36, 0x1800, v50
	s_delay_alu instid0(VALU_DEP_1)
	v_cmp_lt_u32_e64 s23, v36, v52
	s_and_saveexec_b32 s46, s23
	s_cbranch_execz .LBB27_1150
; %bb.1141:
	v_dual_mov_b32 v37, 1 :: v_dual_add_nc_u32 v24, v53, v36
	s_mov_b32 s25, 0
	s_mov_b32 s47, exec_lo
	s_delay_alu instid0(VALU_DEP_1) | instskip(NEXT) | instid1(VALU_DEP_1)
	v_mul_lo_u32 v36, 0x1388, v24
	v_cmpx_ne_u32_e32 0, v36
	s_cbranch_execz .LBB27_1147
; %bb.1142:
	v_mov_b32_e32 v37, 0
	v_mov_b64_e32 v[48:49], 1
	s_mov_b64 s[42:43], 0xbc8f
	s_mov_b64 s[26:27], 0xfffffffd
	;; [unrolled: 1-line block ×3, first 2 shown]
	v_mov_b64_e32 v[38:39], v[36:37]
	s_mov_b64 s[40:41], 0x80000001
	s_mov_b32 s56, 0
	s_branch .LBB27_1144
.LBB27_1143:                            ;   in Loop: Header=BB27_1144 Depth=1
	s_or_b32 exec_lo, exec_lo, s24
	s_mul_u64 s[42:43], s[42:43], s[42:43]
	s_mov_b32 s59, s25
	s_and_b64 s[60:61], s[42:43], s[26:27]
	s_mov_b32 s24, s43
	s_mul_u64 s[72:73], s[60:61], 3
	s_mul_u64 s[74:75], s[24:25], 3
	s_mov_b32 s58, s73
	s_mul_u64 s[60:61], s[60:61], s[40:41]
	s_add_nc_u64 s[58:59], s[74:75], s[58:59]
	v_lshrrev_b64 v[54:55], 1, v[38:39]
	s_and_b64 s[74:75], s[58:59], s[28:29]
	s_mov_b32 s73, s25
	s_add_nc_u64 s[60:61], s[60:61], s[74:75]
	s_mov_b32 s77, s25
	s_mov_b32 s72, s59
	;; [unrolled: 1-line block ×3, first 2 shown]
	s_mul_u64 s[60:61], s[24:25], s[40:41]
	s_add_nc_u64 s[58:59], s[72:73], s[76:77]
	v_cmp_gt_u64_e32 vcc_lo, 2, v[38:39]
	s_add_nc_u64 s[58:59], s[60:61], s[58:59]
	v_mov_b64_e32 v[38:39], v[54:55]
	s_lshr_b64 s[58:59], s[58:59], 30
	s_delay_alu instid0(SALU_CYCLE_1)
	s_mul_u64 s[58:59], s[58:59], 0x7fffffff
	s_or_b32 s56, vcc_lo, s56
	s_sub_nc_u64 s[42:43], s[42:43], s[58:59]
	s_and_not1_b32 exec_lo, exec_lo, s56
	s_cbranch_execz .LBB27_1146
.LBB27_1144:                            ; =>This Inner Loop Header: Depth=1
	s_delay_alu instid0(VALU_DEP_1) | instskip(SKIP_1) | instid1(VALU_DEP_1)
	v_and_b32_e32 v24, 1, v38
	s_mov_b32 s24, exec_lo
	v_cmpx_eq_u32_e32 1, v24
	s_cbranch_execz .LBB27_1143
; %bb.1145:                             ;   in Loop: Header=BB27_1144 Depth=1
	v_mul_u64_e32 v[48:49], s[42:43], v[48:49]
	s_delay_alu instid0(VALU_DEP_1) | instskip(NEXT) | instid1(VALU_DEP_1)
	v_mov_b32_e32 v36, v48
	v_mul_u64_e32 v[54:55], 5, v[36:37]
	s_delay_alu instid0(VALU_DEP_1) | instskip(NEXT) | instid1(VALU_DEP_1)
	v_mov_b32_e32 v36, v55
	v_mad_nc_u64_u32 v[54:55], v49, 5, v[36:37]
	s_delay_alu instid0(VALU_DEP_1) | instskip(NEXT) | instid1(VALU_DEP_1)
	v_dual_mov_b32 v36, v55 :: v_dual_mov_b32 v55, v37
	v_mad_nc_u64_u32 v[54:55], v48, 2, v[54:55]
	s_delay_alu instid0(VALU_DEP_1) | instskip(NEXT) | instid1(VALU_DEP_1)
	v_dual_mov_b32 v54, v55 :: v_dual_mov_b32 v55, v37
	v_add_nc_u64_e32 v[54:55], v[36:37], v[54:55]
	s_delay_alu instid0(VALU_DEP_1) | instskip(NEXT) | instid1(VALU_DEP_1)
	v_mad_nc_u64_u32 v[54:55], v49, 2, v[54:55]
	v_sub_nc_u64_e32 v[64:65], v[48:49], v[54:55]
	s_delay_alu instid0(VALU_DEP_1) | instskip(NEXT) | instid1(VALU_DEP_1)
	v_lshrrev_b64 v[64:65], 1, v[64:65]
	v_add_nc_u64_e32 v[54:55], v[64:65], v[54:55]
	s_delay_alu instid0(VALU_DEP_1) | instskip(NEXT) | instid1(VALU_DEP_1)
	v_lshrrev_b64 v[54:55], 30, v[54:55]
	v_mul_u64_e32 v[54:55], 0x7fffffff, v[54:55]
	s_delay_alu instid0(VALU_DEP_1)
	v_sub_nc_u64_e32 v[48:49], v[48:49], v[54:55]
	s_branch .LBB27_1143
.LBB27_1146:
	s_or_b32 exec_lo, exec_lo, s56
	v_add_min_u32_e64 v24, 0x80000001, v48, v48
	s_delay_alu instid0(VALU_DEP_1)
	v_add_min_u32_e64 v37, 0x80000001, v24, v24
.LBB27_1147:
	s_or_b32 exec_lo, exec_lo, s47
	v_mov_b32_e32 v24, 0
	s_movk_i32 s27, 0x1388
	s_brev_b32 s26, 12
.LBB27_1148:                            ; =>This Inner Loop Header: Depth=1
	v_mul_hi_u32 v36, 0xbc8f1391, v37
	s_delay_alu instid0(VALU_DEP_2) | instskip(NEXT) | instid1(VALU_DEP_2)
	v_add_f32_e32 v54, 1.0, v24
	v_lshrrev_b32_e32 v36, 15, v36
	s_delay_alu instid0(VALU_DEP_1) | instskip(NEXT) | instid1(VALU_DEP_1)
	v_mul_u32_u24_e32 v38, 0xadc8, v36
	v_sub_nc_u32_e32 v37, v37, v38
	v_mul_u32_u24_e32 v36, 0xd47, v36
	s_delay_alu instid0(VALU_DEP_2) | instskip(NEXT) | instid1(VALU_DEP_2)
	v_mul_lo_u32 v37, 0xbc8f, v37
	v_xor_b32_e32 v38, 0x7fffffff, v36
	v_sub_nc_u32_e32 v39, 0, v36
	s_delay_alu instid0(VALU_DEP_3) | instskip(NEXT) | instid1(VALU_DEP_2)
	v_cmp_lt_u32_e32 vcc_lo, v37, v36
	v_cndmask_b32_e32 v36, v39, v38, vcc_lo
	s_delay_alu instid0(VALU_DEP_1) | instskip(NEXT) | instid1(VALU_DEP_1)
	v_add_nc_u32_e32 v36, v36, v37
	v_mul_hi_u32 v37, 0xbc8f1391, v36
	s_delay_alu instid0(VALU_DEP_1) | instskip(NEXT) | instid1(VALU_DEP_1)
	v_lshrrev_b32_e32 v37, 15, v37
	v_mul_u32_u24_e32 v38, 0xadc8, v37
	v_mul_u32_u24_e32 v37, 0xd47, v37
	s_delay_alu instid0(VALU_DEP_1) | instskip(SKIP_1) | instid1(VALU_DEP_2)
	v_dual_sub_nc_u32 v38, v36, v38 :: v_dual_sub_nc_u32 v48, 0, v37
	v_xor_b32_e32 v39, 0x7fffffff, v37
	v_mul_lo_u32 v38, 0xbc8f, v38
	s_delay_alu instid0(VALU_DEP_1) | instskip(NEXT) | instid1(VALU_DEP_3)
	v_cmp_lt_u32_e32 vcc_lo, v38, v37
	v_cndmask_b32_e32 v37, v48, v39, vcc_lo
	s_delay_alu instid0(VALU_DEP_1) | instskip(NEXT) | instid1(VALU_DEP_1)
	v_add_nc_u32_e32 v37, v37, v38
	v_mul_hi_u32 v38, 0xbc8f1391, v37
	s_delay_alu instid0(VALU_DEP_1) | instskip(NEXT) | instid1(VALU_DEP_1)
	v_lshrrev_b32_e32 v38, 15, v38
	v_mul_u32_u24_e32 v39, 0xadc8, v38
	v_mul_u32_u24_e32 v38, 0xd47, v38
	s_delay_alu instid0(VALU_DEP_1) | instskip(SKIP_1) | instid1(VALU_DEP_2)
	v_dual_sub_nc_u32 v49, 0, v38 :: v_dual_sub_nc_u32 v39, v37, v39
	v_xor_b32_e32 v48, 0x7fffffff, v38
	v_mul_lo_u32 v39, 0xbc8f, v39
	s_delay_alu instid0(VALU_DEP_1) | instskip(NEXT) | instid1(VALU_DEP_3)
	v_cmp_lt_u32_e32 vcc_lo, v39, v38
	v_cndmask_b32_e32 v38, v49, v48, vcc_lo
	s_delay_alu instid0(VALU_DEP_1) | instskip(NEXT) | instid1(VALU_DEP_1)
	v_add_nc_u32_e32 v48, v38, v39
	v_mul_hi_u32 v38, 0xbc8f1391, v48
	s_delay_alu instid0(VALU_DEP_1) | instskip(NEXT) | instid1(VALU_DEP_1)
	v_lshrrev_b32_e32 v38, 15, v38
	v_mul_u32_u24_e32 v39, 0xadc8, v38
	s_delay_alu instid0(VALU_DEP_1) | instskip(NEXT) | instid1(VALU_DEP_1)
	v_sub_nc_u32_e32 v39, v48, v39
	v_mul_lo_u32 v49, 0xbc8f, v39
	v_mul_u32_u24_e32 v39, 0xd47, v38
	s_delay_alu instid0(VALU_DEP_1) | instskip(NEXT) | instid1(VALU_DEP_1)
	v_dual_add_nc_u32 v36, -1, v36 :: v_dual_sub_nc_u32 v55, 0, v39
	v_cvt_f32_u32_e32 v38, v36
	v_xor_b32_e32 v36, 0x7fffffff, v39
	v_cmp_lt_u32_e32 vcc_lo, v49, v39
	s_delay_alu instid0(VALU_DEP_2) | instskip(NEXT) | instid1(VALU_DEP_1)
	v_dual_cndmask_b32 v36, v55, v36 :: v_dual_add_nc_u32 v37, -1, v37
	v_cvt_f32_u32_e32 v39, v37
	s_delay_alu instid0(VALU_DEP_2) | instskip(NEXT) | instid1(VALU_DEP_2)
	v_dual_add_nc_u32 v37, v36, v49 :: v_dual_add_nc_u32 v36, -1, v48
	v_pk_fma_f32 v[38:39], v[38:39], s[26:27], 0 op_sel_hi:[1,0,0]
	s_delay_alu instid0(VALU_DEP_2) | instskip(NEXT) | instid1(VALU_DEP_2)
	v_cvt_f32_u32_e32 v48, v36
	v_pk_mul_f32 v[38:39], v[38:39], v[38:39]
	s_delay_alu instid0(VALU_DEP_1) | instskip(NEXT) | instid1(VALU_DEP_1)
	v_dual_add_f32 v36, v38, v39 :: v_dual_add_nc_u32 v49, -1, v37
	v_cvt_f32_u32_e32 v49, v49
	s_delay_alu instid0(VALU_DEP_2) | instskip(NEXT) | instid1(VALU_DEP_2)
	v_cmp_gt_f32_e32 vcc_lo, 0xf800000, v36
	v_pk_fma_f32 v[38:39], v[48:49], s[26:27], 0 op_sel_hi:[1,0,0]
	v_mul_f32_e32 v48, 0x4f800000, v36
	s_add_co_i32 s27, s27, -2
	s_delay_alu instid0(SALU_CYCLE_1) | instskip(NEXT) | instid1(VALU_DEP_2)
	s_cmp_lg_u32 s27, 0
	v_pk_mul_f32 v[38:39], v[38:39], v[38:39]
	s_delay_alu instid0(VALU_DEP_1) | instskip(NEXT) | instid1(VALU_DEP_1)
	v_dual_cndmask_b32 v36, v36, v48, vcc_lo :: v_dual_add_f32 v38, v38, v39
	v_sqrt_f32_e32 v39, v36
	s_delay_alu instid0(VALU_DEP_1)
	v_mul_f32_e32 v48, 0x4f800000, v38
	v_cmp_gt_f32_e64 s24, 0xf800000, v38
	s_delay_alu instid0(TRANS32_DEP_1) | instid1(VALU_DEP_1)
	v_dual_add_nc_u32 v49, -1, v39 :: v_dual_cndmask_b32 v38, v38, v48, s24
	s_delay_alu instid0(VALU_DEP_1) | instskip(NEXT) | instid1(VALU_DEP_2)
	v_dual_add_nc_u32 v48, 1, v39 :: v_dual_fma_f32 v55, -v49, v39, v36
	v_sqrt_f32_e32 v64, v38
	s_delay_alu instid0(VALU_DEP_1) | instskip(NEXT) | instid1(VALU_DEP_2)
	v_fma_f32 v65, -v48, v39, v36
	v_cmp_ge_f32_e64 s25, 0, v55
	s_delay_alu instid0(VALU_DEP_1) | instskip(NEXT) | instid1(VALU_DEP_3)
	v_cndmask_b32_e64 v39, v39, v49, s25
	v_cmp_lt_f32_e64 s25, 0, v65
	s_delay_alu instid0(TRANS32_DEP_1) | instskip(NEXT) | instid1(VALU_DEP_2)
	v_add_nc_u32_e32 v49, -1, v64
	v_cndmask_b32_e64 v39, v39, v48, s25
	s_delay_alu instid0(VALU_DEP_2) | instskip(NEXT) | instid1(VALU_DEP_1)
	v_dual_add_nc_u32 v48, 1, v64 :: v_dual_fma_f32 v55, -v49, v64, v38
	v_fma_f32 v66, -v48, v64, v38
	s_delay_alu instid0(VALU_DEP_2) | instskip(NEXT) | instid1(VALU_DEP_1)
	v_cmp_ge_f32_e64 s25, 0, v55
	v_cndmask_b32_e64 v49, v64, v49, s25
	v_mul_f32_e32 v65, 0x37800000, v39
	s_delay_alu instid0(VALU_DEP_4) | instskip(NEXT) | instid1(VALU_DEP_1)
	v_cmp_lt_f32_e64 s25, 0, v66
	v_dual_cndmask_b32 v39, v39, v65, vcc_lo :: v_dual_cndmask_b32 v48, v49, v48, s25
	v_cmp_class_f32_e64 vcc_lo, v36, 0x260
	s_delay_alu instid0(VALU_DEP_2) | instskip(NEXT) | instid1(VALU_DEP_1)
	v_cndmask_b32_e32 v36, v39, v36, vcc_lo
	v_cmp_nge_f32_e32 vcc_lo, 1.0, v36
	v_cndmask_b32_e32 v24, v54, v24, vcc_lo
	v_cmp_class_f32_e64 vcc_lo, v38, 0x260
	v_mul_f32_e32 v39, 0x37800000, v48
	s_delay_alu instid0(VALU_DEP_1) | instskip(NEXT) | instid1(VALU_DEP_1)
	v_dual_cndmask_b32 v36, v48, v39, s24 :: v_dual_add_f32 v39, 1.0, v24
	v_cndmask_b32_e32 v36, v36, v38, vcc_lo
	s_delay_alu instid0(VALU_DEP_1) | instskip(NEXT) | instid1(VALU_DEP_3)
	v_cmp_nge_f32_e32 vcc_lo, 1.0, v36
	v_cndmask_b32_e32 v24, v39, v24, vcc_lo
	s_cbranch_scc1 .LBB27_1148
; %bb.1149:
	s_delay_alu instid0(VALU_DEP_1) | instskip(NEXT) | instid1(VALU_DEP_1)
	v_mul_f32_e32 v24, 4.0, v24
	v_div_scale_f32 v36, null, 0x459c4000, 0x459c4000, v24
	s_delay_alu instid0(VALU_DEP_1) | instskip(SKIP_1) | instid1(TRANS32_DEP_1)
	v_rcp_f32_e32 v37, v36
	v_nop
	v_fma_f32 v38, -v36, v37, 1.0
	s_delay_alu instid0(VALU_DEP_1) | instskip(SKIP_1) | instid1(VALU_DEP_1)
	v_fmac_f32_e32 v37, v38, v37
	v_div_scale_f32 v38, vcc_lo, v24, 0x459c4000, v24
	v_mul_f32_e32 v39, v38, v37
	s_delay_alu instid0(VALU_DEP_1) | instskip(NEXT) | instid1(VALU_DEP_1)
	v_fma_f32 v48, -v36, v39, v38
	v_fmac_f32_e32 v39, v48, v37
	s_delay_alu instid0(VALU_DEP_1) | instskip(NEXT) | instid1(VALU_DEP_1)
	v_fma_f32 v36, -v36, v39, v38
	v_div_fmas_f32 v36, v36, v37, v39
	s_delay_alu instid0(VALU_DEP_1)
	v_div_fixup_f32 v24, v36, 0x459c4000, v24
.LBB27_1150:
	s_or_b32 exec_lo, exec_lo, s46
	v_add_nc_u32_e32 v36, 0x1900, v50
	s_delay_alu instid0(VALU_DEP_1)
	v_cmp_lt_u32_e64 s24, v36, v52
	s_and_saveexec_b32 s56, s24
	s_cbranch_execz .LBB27_1160
; %bb.1151:
	v_dual_add_nc_u32 v25, v53, v36 :: v_dual_mov_b32 v37, 1
	s_mov_b32 s27, 0
	s_mov_b32 s25, exec_lo
	s_delay_alu instid0(VALU_DEP_1) | instskip(NEXT) | instid1(VALU_DEP_1)
	v_mul_lo_u32 v36, 0x1388, v25
	v_cmpx_ne_u32_e32 0, v36
	s_cbranch_execz .LBB27_1157
; %bb.1152:
	v_mov_b32_e32 v37, 0
	v_mov_b64_e32 v[48:49], 1
	s_mov_b64 s[46:47], 0xbc8f
	s_mov_b64 s[28:29], 0xfffffffd
	s_mov_b64 s[40:41], 0xffffffff
	v_mov_b64_e32 v[38:39], v[36:37]
	s_mov_b64 s[42:43], 0x80000001
	s_mov_b32 s57, 0
	s_branch .LBB27_1154
.LBB27_1153:                            ;   in Loop: Header=BB27_1154 Depth=1
	s_or_b32 exec_lo, exec_lo, s26
	s_mul_u64 s[46:47], s[46:47], s[46:47]
	s_mov_b32 s59, s27
	s_and_b64 s[60:61], s[46:47], s[28:29]
	s_mov_b32 s26, s47
	s_mul_u64 s[72:73], s[60:61], 3
	s_mul_u64 s[74:75], s[26:27], 3
	s_mov_b32 s58, s73
	s_mul_u64 s[60:61], s[60:61], s[42:43]
	s_add_nc_u64 s[58:59], s[74:75], s[58:59]
	v_lshrrev_b64 v[54:55], 1, v[38:39]
	s_and_b64 s[74:75], s[58:59], s[40:41]
	s_mov_b32 s73, s27
	s_add_nc_u64 s[60:61], s[60:61], s[74:75]
	s_mov_b32 s77, s27
	s_mov_b32 s72, s59
	;; [unrolled: 1-line block ×3, first 2 shown]
	s_mul_u64 s[60:61], s[26:27], s[42:43]
	s_add_nc_u64 s[58:59], s[72:73], s[76:77]
	v_cmp_gt_u64_e32 vcc_lo, 2, v[38:39]
	s_add_nc_u64 s[58:59], s[60:61], s[58:59]
	v_mov_b64_e32 v[38:39], v[54:55]
	s_lshr_b64 s[58:59], s[58:59], 30
	s_delay_alu instid0(SALU_CYCLE_1)
	s_mul_u64 s[58:59], s[58:59], 0x7fffffff
	s_or_b32 s57, vcc_lo, s57
	s_sub_nc_u64 s[46:47], s[46:47], s[58:59]
	s_and_not1_b32 exec_lo, exec_lo, s57
	s_cbranch_execz .LBB27_1156
.LBB27_1154:                            ; =>This Inner Loop Header: Depth=1
	s_delay_alu instid0(VALU_DEP_1) | instskip(SKIP_1) | instid1(VALU_DEP_1)
	v_and_b32_e32 v25, 1, v38
	s_mov_b32 s26, exec_lo
	v_cmpx_eq_u32_e32 1, v25
	s_cbranch_execz .LBB27_1153
; %bb.1155:                             ;   in Loop: Header=BB27_1154 Depth=1
	v_mul_u64_e32 v[48:49], s[46:47], v[48:49]
	s_delay_alu instid0(VALU_DEP_1) | instskip(NEXT) | instid1(VALU_DEP_1)
	v_mov_b32_e32 v36, v48
	v_mul_u64_e32 v[54:55], 5, v[36:37]
	s_delay_alu instid0(VALU_DEP_1) | instskip(NEXT) | instid1(VALU_DEP_1)
	v_mov_b32_e32 v36, v55
	v_mad_nc_u64_u32 v[54:55], v49, 5, v[36:37]
	s_delay_alu instid0(VALU_DEP_1) | instskip(NEXT) | instid1(VALU_DEP_1)
	v_dual_mov_b32 v36, v55 :: v_dual_mov_b32 v55, v37
	v_mad_nc_u64_u32 v[54:55], v48, 2, v[54:55]
	s_delay_alu instid0(VALU_DEP_1) | instskip(NEXT) | instid1(VALU_DEP_1)
	v_dual_mov_b32 v54, v55 :: v_dual_mov_b32 v55, v37
	v_add_nc_u64_e32 v[54:55], v[36:37], v[54:55]
	s_delay_alu instid0(VALU_DEP_1) | instskip(NEXT) | instid1(VALU_DEP_1)
	v_mad_nc_u64_u32 v[54:55], v49, 2, v[54:55]
	v_sub_nc_u64_e32 v[64:65], v[48:49], v[54:55]
	s_delay_alu instid0(VALU_DEP_1) | instskip(NEXT) | instid1(VALU_DEP_1)
	v_lshrrev_b64 v[64:65], 1, v[64:65]
	v_add_nc_u64_e32 v[54:55], v[64:65], v[54:55]
	s_delay_alu instid0(VALU_DEP_1) | instskip(NEXT) | instid1(VALU_DEP_1)
	v_lshrrev_b64 v[54:55], 30, v[54:55]
	v_mul_u64_e32 v[54:55], 0x7fffffff, v[54:55]
	s_delay_alu instid0(VALU_DEP_1)
	v_sub_nc_u64_e32 v[48:49], v[48:49], v[54:55]
	s_branch .LBB27_1153
.LBB27_1156:
	s_or_b32 exec_lo, exec_lo, s57
	v_add_min_u32_e64 v25, 0x80000001, v48, v48
	s_delay_alu instid0(VALU_DEP_1)
	v_add_min_u32_e64 v37, 0x80000001, v25, v25
.LBB27_1157:
	s_or_b32 exec_lo, exec_lo, s25
	v_mov_b32_e32 v25, 0
	s_movk_i32 s27, 0x1388
	s_brev_b32 s28, 12
.LBB27_1158:                            ; =>This Inner Loop Header: Depth=1
	v_mul_hi_u32 v36, 0xbc8f1391, v37
	s_add_co_i32 s27, s27, -2
	s_delay_alu instid0(VALU_DEP_2) | instskip(SKIP_1) | instid1(VALU_DEP_2)
	v_add_f32_e32 v54, 1.0, v25
	s_cmp_lg_u32 s27, 0
	v_lshrrev_b32_e32 v36, 15, v36
	s_delay_alu instid0(VALU_DEP_1) | instskip(NEXT) | instid1(VALU_DEP_1)
	v_mul_u32_u24_e32 v38, 0xadc8, v36
	v_sub_nc_u32_e32 v37, v37, v38
	v_mul_u32_u24_e32 v36, 0xd47, v36
	s_delay_alu instid0(VALU_DEP_2) | instskip(NEXT) | instid1(VALU_DEP_2)
	v_mul_lo_u32 v37, 0xbc8f, v37
	v_xor_b32_e32 v38, 0x7fffffff, v36
	v_sub_nc_u32_e32 v39, 0, v36
	s_delay_alu instid0(VALU_DEP_3) | instskip(NEXT) | instid1(VALU_DEP_2)
	v_cmp_lt_u32_e32 vcc_lo, v37, v36
	v_cndmask_b32_e32 v36, v39, v38, vcc_lo
	s_delay_alu instid0(VALU_DEP_1) | instskip(NEXT) | instid1(VALU_DEP_1)
	v_add_nc_u32_e32 v36, v36, v37
	v_mul_hi_u32 v37, 0xbc8f1391, v36
	s_delay_alu instid0(VALU_DEP_1) | instskip(NEXT) | instid1(VALU_DEP_1)
	v_lshrrev_b32_e32 v37, 15, v37
	v_mul_u32_u24_e32 v38, 0xadc8, v37
	v_mul_u32_u24_e32 v37, 0xd47, v37
	s_delay_alu instid0(VALU_DEP_1) | instskip(SKIP_2) | instid1(VALU_DEP_3)
	v_dual_sub_nc_u32 v38, v36, v38 :: v_dual_sub_nc_u32 v48, 0, v37
	v_xor_b32_e32 v39, 0x7fffffff, v37
	v_add_nc_u32_e32 v36, -1, v36
	v_mul_lo_u32 v38, 0xbc8f, v38
	s_delay_alu instid0(VALU_DEP_1) | instskip(NEXT) | instid1(VALU_DEP_4)
	v_cmp_lt_u32_e32 vcc_lo, v38, v37
	v_cndmask_b32_e32 v37, v48, v39, vcc_lo
	s_delay_alu instid0(VALU_DEP_1) | instskip(NEXT) | instid1(VALU_DEP_1)
	v_add_nc_u32_e32 v37, v37, v38
	v_mul_hi_u32 v38, 0xbc8f1391, v37
	s_delay_alu instid0(VALU_DEP_1) | instskip(NEXT) | instid1(VALU_DEP_1)
	v_lshrrev_b32_e32 v38, 15, v38
	v_mul_u32_u24_e32 v39, 0xadc8, v38
	v_mul_u32_u24_e32 v38, 0xd47, v38
	s_delay_alu instid0(VALU_DEP_1) | instskip(SKIP_2) | instid1(VALU_DEP_3)
	v_dual_sub_nc_u32 v49, 0, v38 :: v_dual_sub_nc_u32 v39, v37, v39
	v_xor_b32_e32 v48, 0x7fffffff, v38
	v_add_nc_u32_e32 v37, -1, v37
	v_mul_lo_u32 v39, 0xbc8f, v39
	s_delay_alu instid0(VALU_DEP_1) | instskip(NEXT) | instid1(VALU_DEP_4)
	v_cmp_lt_u32_e32 vcc_lo, v39, v38
	v_cndmask_b32_e32 v38, v49, v48, vcc_lo
	s_delay_alu instid0(VALU_DEP_1) | instskip(NEXT) | instid1(VALU_DEP_1)
	v_add_nc_u32_e32 v48, v38, v39
	v_mul_hi_u32 v38, 0xbc8f1391, v48
	s_delay_alu instid0(VALU_DEP_1) | instskip(NEXT) | instid1(VALU_DEP_1)
	v_lshrrev_b32_e32 v38, 15, v38
	v_mul_u32_u24_e32 v39, 0xadc8, v38
	s_delay_alu instid0(VALU_DEP_1) | instskip(NEXT) | instid1(VALU_DEP_1)
	v_sub_nc_u32_e32 v39, v48, v39
	v_mul_lo_u32 v49, 0xbc8f, v39
	v_mul_u32_u24_e32 v39, 0xd47, v38
	v_cvt_f32_u32_e32 v38, v36
	s_delay_alu instid0(VALU_DEP_2) | instskip(SKIP_3) | instid1(VALU_DEP_3)
	v_xor_b32_e32 v36, 0x7fffffff, v39
	v_sub_nc_u32_e32 v55, 0, v39
	v_cmp_lt_u32_e32 vcc_lo, v49, v39
	v_cvt_f32_u32_e32 v39, v37
	v_cndmask_b32_e32 v36, v55, v36, vcc_lo
	s_delay_alu instid0(VALU_DEP_2) | instskip(NEXT) | instid1(VALU_DEP_2)
	v_pk_fma_f32 v[38:39], v[38:39], s[28:29], 0 op_sel_hi:[1,0,0]
	v_dual_add_nc_u32 v37, v36, v49 :: v_dual_add_nc_u32 v36, -1, v48
	s_delay_alu instid0(VALU_DEP_2) | instskip(NEXT) | instid1(VALU_DEP_2)
	v_pk_mul_f32 v[38:39], v[38:39], v[38:39]
	v_add_nc_u32_e32 v49, -1, v37
	s_delay_alu instid0(VALU_DEP_3) | instskip(NEXT) | instid1(VALU_DEP_3)
	v_cvt_f32_u32_e32 v48, v36
	v_add_f32_e32 v36, v38, v39
	s_delay_alu instid0(VALU_DEP_3) | instskip(NEXT) | instid1(VALU_DEP_2)
	v_cvt_f32_u32_e32 v49, v49
	v_cmp_gt_f32_e32 vcc_lo, 0xf800000, v36
	s_delay_alu instid0(VALU_DEP_2) | instskip(SKIP_1) | instid1(VALU_DEP_2)
	v_pk_fma_f32 v[38:39], v[48:49], s[28:29], 0 op_sel_hi:[1,0,0]
	v_mul_f32_e32 v48, 0x4f800000, v36
	v_pk_mul_f32 v[38:39], v[38:39], v[38:39]
	s_delay_alu instid0(VALU_DEP_1) | instskip(NEXT) | instid1(VALU_DEP_1)
	v_add_f32_e32 v38, v38, v39
	v_cmp_gt_f32_e64 s25, 0xf800000, v38
	s_delay_alu instid0(VALU_DEP_4) | instskip(SKIP_1) | instid1(VALU_DEP_1)
	v_cndmask_b32_e32 v36, v36, v48, vcc_lo
	v_mul_f32_e32 v48, 0x4f800000, v38
	v_cndmask_b32_e64 v38, v38, v48, s25
	s_delay_alu instid0(VALU_DEP_3) | instskip(NEXT) | instid1(VALU_DEP_1)
	v_sqrt_f32_e32 v39, v36
	v_sqrt_f32_e32 v64, v38
	s_delay_alu instid0(TRANS32_DEP_2) | instskip(NEXT) | instid1(VALU_DEP_1)
	v_dual_add_nc_u32 v49, -1, v39 :: v_dual_add_nc_u32 v48, 1, v39
	v_fma_f32 v55, -v49, v39, v36
	s_delay_alu instid0(VALU_DEP_1) | instskip(NEXT) | instid1(VALU_DEP_1)
	v_cmp_ge_f32_e64 s26, 0, v55
	v_dual_fma_f32 v65, -v48, v39, v36 :: v_dual_cndmask_b32 v39, v39, v49, s26
	s_delay_alu instid0(VALU_DEP_1) | instskip(NEXT) | instid1(TRANS32_DEP_1)
	v_cmp_lt_f32_e64 s26, 0, v65
	v_add_nc_u32_e32 v49, -1, v64
	s_delay_alu instid0(VALU_DEP_2) | instskip(NEXT) | instid1(VALU_DEP_2)
	v_cndmask_b32_e64 v39, v39, v48, s26
	v_dual_add_nc_u32 v48, 1, v64 :: v_dual_fma_f32 v55, -v49, v64, v38
	s_delay_alu instid0(VALU_DEP_1) | instskip(NEXT) | instid1(VALU_DEP_1)
	v_cmp_ge_f32_e64 s26, 0, v55
	v_cndmask_b32_e64 v49, v64, v49, s26
	s_delay_alu instid0(VALU_DEP_4) | instskip(NEXT) | instid1(VALU_DEP_1)
	v_mul_f32_e32 v65, 0x37800000, v39
	v_cndmask_b32_e32 v39, v39, v65, vcc_lo
	v_cmp_class_f32_e64 vcc_lo, v36, 0x260
	s_delay_alu instid0(VALU_DEP_2) | instskip(NEXT) | instid1(VALU_DEP_1)
	v_cndmask_b32_e32 v36, v39, v36, vcc_lo
	v_cmp_nge_f32_e32 vcc_lo, 1.0, v36
	s_delay_alu instid0(VALU_DEP_3) | instskip(NEXT) | instid1(VALU_DEP_1)
	v_dual_fma_f32 v66, -v48, v64, v38 :: v_dual_cndmask_b32 v25, v54, v25, vcc_lo
	v_cmp_lt_f32_e64 s26, 0, v66
	v_cmp_class_f32_e64 vcc_lo, v38, 0x260
	s_delay_alu instid0(VALU_DEP_2) | instskip(NEXT) | instid1(VALU_DEP_1)
	v_cndmask_b32_e64 v48, v49, v48, s26
	v_mul_f32_e32 v39, 0x37800000, v48
	s_delay_alu instid0(VALU_DEP_1) | instskip(NEXT) | instid1(VALU_DEP_1)
	v_dual_cndmask_b32 v36, v48, v39, s25 :: v_dual_add_f32 v39, 1.0, v25
	v_cndmask_b32_e32 v36, v36, v38, vcc_lo
	s_delay_alu instid0(VALU_DEP_1) | instskip(NEXT) | instid1(VALU_DEP_3)
	v_cmp_nge_f32_e32 vcc_lo, 1.0, v36
	v_cndmask_b32_e32 v25, v39, v25, vcc_lo
	s_cbranch_scc1 .LBB27_1158
; %bb.1159:
	s_delay_alu instid0(VALU_DEP_1) | instskip(NEXT) | instid1(VALU_DEP_1)
	v_mul_f32_e32 v25, 4.0, v25
	v_div_scale_f32 v36, null, 0x459c4000, 0x459c4000, v25
	s_delay_alu instid0(VALU_DEP_1) | instskip(SKIP_1) | instid1(TRANS32_DEP_1)
	v_rcp_f32_e32 v37, v36
	v_nop
	v_fma_f32 v38, -v36, v37, 1.0
	s_delay_alu instid0(VALU_DEP_1) | instskip(SKIP_1) | instid1(VALU_DEP_1)
	v_fmac_f32_e32 v37, v38, v37
	v_div_scale_f32 v38, vcc_lo, v25, 0x459c4000, v25
	v_mul_f32_e32 v39, v38, v37
	s_delay_alu instid0(VALU_DEP_1) | instskip(NEXT) | instid1(VALU_DEP_1)
	v_fma_f32 v48, -v36, v39, v38
	v_fmac_f32_e32 v39, v48, v37
	s_delay_alu instid0(VALU_DEP_1) | instskip(NEXT) | instid1(VALU_DEP_1)
	v_fma_f32 v36, -v36, v39, v38
	v_div_fmas_f32 v36, v36, v37, v39
	s_delay_alu instid0(VALU_DEP_1)
	v_div_fixup_f32 v25, v36, 0x459c4000, v25
.LBB27_1160:
	s_or_b32 exec_lo, exec_lo, s56
	v_add_nc_u32_e32 v36, 0x1a00, v50
	s_delay_alu instid0(VALU_DEP_1)
	v_cmp_lt_u32_e64 s25, v36, v52
	s_and_saveexec_b32 s56, s25
	s_cbranch_execz .LBB27_1170
; %bb.1161:
	v_dual_mov_b32 v37, 1 :: v_dual_add_nc_u32 v26, v53, v36
	s_mov_b32 s27, 0
	s_mov_b32 s57, exec_lo
	s_delay_alu instid0(VALU_DEP_1) | instskip(NEXT) | instid1(VALU_DEP_1)
	v_mul_lo_u32 v36, 0x1388, v26
	v_cmpx_ne_u32_e32 0, v36
	s_cbranch_execz .LBB27_1167
; %bb.1162:
	v_mov_b32_e32 v37, 0
	v_mov_b64_e32 v[48:49], 1
	s_mov_b64 s[46:47], 0xbc8f
	s_mov_b64 s[28:29], 0xfffffffd
	;; [unrolled: 1-line block ×3, first 2 shown]
	v_mov_b64_e32 v[38:39], v[36:37]
	s_mov_b64 s[42:43], 0x80000001
	s_mov_b32 s58, 0
	s_branch .LBB27_1164
.LBB27_1163:                            ;   in Loop: Header=BB27_1164 Depth=1
	s_or_b32 exec_lo, exec_lo, s26
	s_mul_u64 s[46:47], s[46:47], s[46:47]
	s_mov_b32 s61, s27
	s_and_b64 s[72:73], s[46:47], s[28:29]
	s_mov_b32 s26, s47
	s_mul_u64 s[74:75], s[72:73], 3
	s_mul_u64 s[76:77], s[26:27], 3
	s_mov_b32 s60, s75
	s_mul_u64 s[72:73], s[72:73], s[42:43]
	s_add_nc_u64 s[60:61], s[76:77], s[60:61]
	v_lshrrev_b64 v[54:55], 1, v[38:39]
	s_and_b64 s[76:77], s[60:61], s[40:41]
	s_mov_b32 s75, s27
	s_add_nc_u64 s[72:73], s[72:73], s[76:77]
	s_mov_b32 s79, s27
	s_mov_b32 s74, s61
	;; [unrolled: 1-line block ×3, first 2 shown]
	s_mul_u64 s[72:73], s[26:27], s[42:43]
	s_add_nc_u64 s[60:61], s[74:75], s[78:79]
	v_cmp_gt_u64_e32 vcc_lo, 2, v[38:39]
	s_add_nc_u64 s[60:61], s[72:73], s[60:61]
	v_mov_b64_e32 v[38:39], v[54:55]
	s_lshr_b64 s[60:61], s[60:61], 30
	s_delay_alu instid0(SALU_CYCLE_1)
	s_mul_u64 s[60:61], s[60:61], 0x7fffffff
	s_or_b32 s58, vcc_lo, s58
	s_sub_nc_u64 s[46:47], s[46:47], s[60:61]
	s_and_not1_b32 exec_lo, exec_lo, s58
	s_cbranch_execz .LBB27_1166
.LBB27_1164:                            ; =>This Inner Loop Header: Depth=1
	s_delay_alu instid0(VALU_DEP_1) | instskip(SKIP_1) | instid1(VALU_DEP_1)
	v_and_b32_e32 v26, 1, v38
	s_mov_b32 s26, exec_lo
	v_cmpx_eq_u32_e32 1, v26
	s_cbranch_execz .LBB27_1163
; %bb.1165:                             ;   in Loop: Header=BB27_1164 Depth=1
	v_mul_u64_e32 v[48:49], s[46:47], v[48:49]
	s_delay_alu instid0(VALU_DEP_1) | instskip(NEXT) | instid1(VALU_DEP_1)
	v_mov_b32_e32 v36, v48
	v_mul_u64_e32 v[54:55], 5, v[36:37]
	s_delay_alu instid0(VALU_DEP_1) | instskip(NEXT) | instid1(VALU_DEP_1)
	v_mov_b32_e32 v36, v55
	v_mad_nc_u64_u32 v[54:55], v49, 5, v[36:37]
	s_delay_alu instid0(VALU_DEP_1) | instskip(NEXT) | instid1(VALU_DEP_1)
	v_dual_mov_b32 v36, v55 :: v_dual_mov_b32 v55, v37
	v_mad_nc_u64_u32 v[54:55], v48, 2, v[54:55]
	s_delay_alu instid0(VALU_DEP_1) | instskip(NEXT) | instid1(VALU_DEP_1)
	v_dual_mov_b32 v54, v55 :: v_dual_mov_b32 v55, v37
	v_add_nc_u64_e32 v[54:55], v[36:37], v[54:55]
	s_delay_alu instid0(VALU_DEP_1) | instskip(NEXT) | instid1(VALU_DEP_1)
	v_mad_nc_u64_u32 v[54:55], v49, 2, v[54:55]
	v_sub_nc_u64_e32 v[64:65], v[48:49], v[54:55]
	s_delay_alu instid0(VALU_DEP_1) | instskip(NEXT) | instid1(VALU_DEP_1)
	v_lshrrev_b64 v[64:65], 1, v[64:65]
	v_add_nc_u64_e32 v[54:55], v[64:65], v[54:55]
	s_delay_alu instid0(VALU_DEP_1) | instskip(NEXT) | instid1(VALU_DEP_1)
	v_lshrrev_b64 v[54:55], 30, v[54:55]
	v_mul_u64_e32 v[54:55], 0x7fffffff, v[54:55]
	s_delay_alu instid0(VALU_DEP_1)
	v_sub_nc_u64_e32 v[48:49], v[48:49], v[54:55]
	s_branch .LBB27_1163
.LBB27_1166:
	s_or_b32 exec_lo, exec_lo, s58
	v_add_min_u32_e64 v26, 0x80000001, v48, v48
	s_delay_alu instid0(VALU_DEP_1)
	v_add_min_u32_e64 v37, 0x80000001, v26, v26
.LBB27_1167:
	s_or_b32 exec_lo, exec_lo, s57
	v_mov_b32_e32 v26, 0
	s_movk_i32 s29, 0x1388
	s_brev_b32 s28, 12
.LBB27_1168:                            ; =>This Inner Loop Header: Depth=1
	v_mul_hi_u32 v36, 0xbc8f1391, v37
	s_delay_alu instid0(VALU_DEP_1) | instskip(NEXT) | instid1(VALU_DEP_1)
	v_dual_add_f32 v54, 1.0, v26 :: v_dual_lshrrev_b32 v36, 15, v36
	v_mul_u32_u24_e32 v38, 0xadc8, v36
	s_delay_alu instid0(VALU_DEP_1) | instskip(SKIP_1) | instid1(VALU_DEP_2)
	v_sub_nc_u32_e32 v37, v37, v38
	v_mul_u32_u24_e32 v36, 0xd47, v36
	v_mul_lo_u32 v37, 0xbc8f, v37
	s_delay_alu instid0(VALU_DEP_2) | instskip(SKIP_1) | instid1(VALU_DEP_3)
	v_xor_b32_e32 v38, 0x7fffffff, v36
	v_sub_nc_u32_e32 v39, 0, v36
	v_cmp_lt_u32_e32 vcc_lo, v37, v36
	s_delay_alu instid0(VALU_DEP_2) | instskip(NEXT) | instid1(VALU_DEP_1)
	v_cndmask_b32_e32 v36, v39, v38, vcc_lo
	v_add_nc_u32_e32 v36, v36, v37
	s_delay_alu instid0(VALU_DEP_1) | instskip(NEXT) | instid1(VALU_DEP_1)
	v_mul_hi_u32 v37, 0xbc8f1391, v36
	v_lshrrev_b32_e32 v37, 15, v37
	s_delay_alu instid0(VALU_DEP_1) | instskip(SKIP_1) | instid1(VALU_DEP_1)
	v_mul_u32_u24_e32 v38, 0xadc8, v37
	v_mul_u32_u24_e32 v37, 0xd47, v37
	v_dual_sub_nc_u32 v38, v36, v38 :: v_dual_sub_nc_u32 v48, 0, v37
	v_xor_b32_e32 v39, 0x7fffffff, v37
	v_add_nc_u32_e32 v36, -1, v36
	s_delay_alu instid0(VALU_DEP_3) | instskip(NEXT) | instid1(VALU_DEP_1)
	v_mul_lo_u32 v38, 0xbc8f, v38
	v_cmp_lt_u32_e32 vcc_lo, v38, v37
	s_delay_alu instid0(VALU_DEP_4) | instskip(NEXT) | instid1(VALU_DEP_1)
	v_cndmask_b32_e32 v37, v48, v39, vcc_lo
	v_add_nc_u32_e32 v37, v37, v38
	s_delay_alu instid0(VALU_DEP_1) | instskip(NEXT) | instid1(VALU_DEP_1)
	v_mul_hi_u32 v38, 0xbc8f1391, v37
	v_lshrrev_b32_e32 v38, 15, v38
	s_delay_alu instid0(VALU_DEP_1) | instskip(SKIP_1) | instid1(VALU_DEP_1)
	v_mul_u32_u24_e32 v39, 0xadc8, v38
	v_mul_u32_u24_e32 v38, 0xd47, v38
	v_dual_sub_nc_u32 v49, 0, v38 :: v_dual_sub_nc_u32 v39, v37, v39
	v_xor_b32_e32 v48, 0x7fffffff, v38
	v_add_nc_u32_e32 v37, -1, v37
	s_delay_alu instid0(VALU_DEP_3) | instskip(NEXT) | instid1(VALU_DEP_1)
	v_mul_lo_u32 v39, 0xbc8f, v39
	v_cmp_lt_u32_e32 vcc_lo, v39, v38
	s_delay_alu instid0(VALU_DEP_4) | instskip(NEXT) | instid1(VALU_DEP_1)
	v_cndmask_b32_e32 v38, v49, v48, vcc_lo
	v_add_nc_u32_e32 v48, v38, v39
	s_delay_alu instid0(VALU_DEP_1) | instskip(NEXT) | instid1(VALU_DEP_1)
	v_mul_hi_u32 v38, 0xbc8f1391, v48
	v_lshrrev_b32_e32 v38, 15, v38
	s_delay_alu instid0(VALU_DEP_1) | instskip(NEXT) | instid1(VALU_DEP_1)
	v_mul_u32_u24_e32 v39, 0xadc8, v38
	v_sub_nc_u32_e32 v39, v48, v39
	s_delay_alu instid0(VALU_DEP_1) | instskip(SKIP_2) | instid1(VALU_DEP_2)
	v_mul_lo_u32 v49, 0xbc8f, v39
	v_mul_u32_u24_e32 v39, 0xd47, v38
	v_cvt_f32_u32_e32 v38, v36
	v_xor_b32_e32 v36, 0x7fffffff, v39
	v_sub_nc_u32_e32 v55, 0, v39
	v_cmp_lt_u32_e32 vcc_lo, v49, v39
	v_cvt_f32_u32_e32 v39, v37
	s_delay_alu instid0(VALU_DEP_3) | instskip(NEXT) | instid1(VALU_DEP_2)
	v_cndmask_b32_e32 v36, v55, v36, vcc_lo
	v_pk_fma_f32 v[38:39], v[38:39], s[28:29], 0 op_sel_hi:[1,0,0]
	s_delay_alu instid0(VALU_DEP_2) | instskip(NEXT) | instid1(VALU_DEP_2)
	v_dual_add_nc_u32 v37, v36, v49 :: v_dual_add_nc_u32 v36, -1, v48
	v_pk_mul_f32 v[38:39], v[38:39], v[38:39]
	s_delay_alu instid0(VALU_DEP_2) | instskip(NEXT) | instid1(VALU_DEP_3)
	v_add_nc_u32_e32 v49, -1, v37
	v_cvt_f32_u32_e32 v48, v36
	s_delay_alu instid0(VALU_DEP_3) | instskip(NEXT) | instid1(VALU_DEP_3)
	v_add_f32_e32 v36, v38, v39
	v_cvt_f32_u32_e32 v49, v49
	s_delay_alu instid0(VALU_DEP_2) | instskip(NEXT) | instid1(VALU_DEP_2)
	v_cmp_gt_f32_e32 vcc_lo, 0xf800000, v36
	v_pk_fma_f32 v[38:39], v[48:49], s[28:29], 0 op_sel_hi:[1,0,0]
	v_mul_f32_e32 v48, 0x4f800000, v36
	s_add_co_i32 s29, s29, -2
	s_delay_alu instid0(SALU_CYCLE_1) | instskip(NEXT) | instid1(VALU_DEP_2)
	s_cmp_lg_u32 s29, 0
	v_pk_mul_f32 v[38:39], v[38:39], v[38:39]
	s_delay_alu instid0(VALU_DEP_1) | instskip(NEXT) | instid1(VALU_DEP_1)
	v_add_f32_e32 v38, v38, v39
	v_cmp_gt_f32_e64 s26, 0xf800000, v38
	v_cndmask_b32_e32 v36, v36, v48, vcc_lo
	v_mul_f32_e32 v48, 0x4f800000, v38
	s_delay_alu instid0(VALU_DEP_1) | instskip(NEXT) | instid1(VALU_DEP_3)
	v_cndmask_b32_e64 v38, v38, v48, s26
	v_sqrt_f32_e32 v39, v36
	s_delay_alu instid0(VALU_DEP_1) | instskip(NEXT) | instid1(TRANS32_DEP_2)
	v_sqrt_f32_e32 v64, v38
	v_dual_add_nc_u32 v49, -1, v39 :: v_dual_add_nc_u32 v48, 1, v39
	s_delay_alu instid0(VALU_DEP_1) | instskip(NEXT) | instid1(VALU_DEP_1)
	v_fma_f32 v55, -v49, v39, v36
	v_cmp_ge_f32_e64 s27, 0, v55
	s_delay_alu instid0(VALU_DEP_1) | instskip(NEXT) | instid1(VALU_DEP_1)
	v_dual_fma_f32 v65, -v48, v39, v36 :: v_dual_cndmask_b32 v39, v39, v49, s27
	v_cmp_lt_f32_e64 s27, 0, v65
	s_delay_alu instid0(TRANS32_DEP_1) | instskip(NEXT) | instid1(VALU_DEP_2)
	v_add_nc_u32_e32 v49, -1, v64
	v_cndmask_b32_e64 v39, v39, v48, s27
	s_delay_alu instid0(VALU_DEP_2) | instskip(NEXT) | instid1(VALU_DEP_1)
	v_dual_add_nc_u32 v48, 1, v64 :: v_dual_fma_f32 v55, -v49, v64, v38
	v_cmp_ge_f32_e64 s27, 0, v55
	s_delay_alu instid0(VALU_DEP_1) | instskip(NEXT) | instid1(VALU_DEP_4)
	v_cndmask_b32_e64 v49, v64, v49, s27
	v_mul_f32_e32 v65, 0x37800000, v39
	s_delay_alu instid0(VALU_DEP_1) | instskip(SKIP_1) | instid1(VALU_DEP_2)
	v_cndmask_b32_e32 v39, v39, v65, vcc_lo
	v_cmp_class_f32_e64 vcc_lo, v36, 0x260
	v_cndmask_b32_e32 v36, v39, v36, vcc_lo
	s_delay_alu instid0(VALU_DEP_1) | instskip(NEXT) | instid1(VALU_DEP_3)
	v_cmp_nge_f32_e32 vcc_lo, 1.0, v36
	v_dual_fma_f32 v66, -v48, v64, v38 :: v_dual_cndmask_b32 v26, v54, v26, vcc_lo
	s_delay_alu instid0(VALU_DEP_1) | instskip(SKIP_1) | instid1(VALU_DEP_2)
	v_cmp_lt_f32_e64 s27, 0, v66
	v_cmp_class_f32_e64 vcc_lo, v38, 0x260
	v_cndmask_b32_e64 v48, v49, v48, s27
	s_delay_alu instid0(VALU_DEP_1) | instskip(NEXT) | instid1(VALU_DEP_1)
	v_mul_f32_e32 v39, 0x37800000, v48
	v_dual_cndmask_b32 v36, v48, v39, s26 :: v_dual_add_f32 v39, 1.0, v26
	s_delay_alu instid0(VALU_DEP_1) | instskip(NEXT) | instid1(VALU_DEP_1)
	v_cndmask_b32_e32 v36, v36, v38, vcc_lo
	v_cmp_nge_f32_e32 vcc_lo, 1.0, v36
	s_delay_alu instid0(VALU_DEP_3)
	v_cndmask_b32_e32 v26, v39, v26, vcc_lo
	s_cbranch_scc1 .LBB27_1168
; %bb.1169:
	s_delay_alu instid0(VALU_DEP_1) | instskip(NEXT) | instid1(VALU_DEP_1)
	v_mul_f32_e32 v26, 4.0, v26
	v_div_scale_f32 v36, null, 0x459c4000, 0x459c4000, v26
	s_delay_alu instid0(VALU_DEP_1) | instskip(SKIP_1) | instid1(TRANS32_DEP_1)
	v_rcp_f32_e32 v37, v36
	v_nop
	v_fma_f32 v38, -v36, v37, 1.0
	s_delay_alu instid0(VALU_DEP_1) | instskip(SKIP_1) | instid1(VALU_DEP_1)
	v_fmac_f32_e32 v37, v38, v37
	v_div_scale_f32 v38, vcc_lo, v26, 0x459c4000, v26
	v_mul_f32_e32 v39, v38, v37
	s_delay_alu instid0(VALU_DEP_1) | instskip(NEXT) | instid1(VALU_DEP_1)
	v_fma_f32 v48, -v36, v39, v38
	v_fmac_f32_e32 v39, v48, v37
	s_delay_alu instid0(VALU_DEP_1) | instskip(NEXT) | instid1(VALU_DEP_1)
	v_fma_f32 v36, -v36, v39, v38
	v_div_fmas_f32 v36, v36, v37, v39
	s_delay_alu instid0(VALU_DEP_1)
	v_div_fixup_f32 v26, v36, 0x459c4000, v26
.LBB27_1170:
	s_or_b32 exec_lo, exec_lo, s56
	v_add_nc_u32_e32 v36, 0x1b00, v50
	s_delay_alu instid0(VALU_DEP_1)
	v_cmp_lt_u32_e64 s26, v36, v52
	s_and_saveexec_b32 s58, s26
	s_cbranch_execz .LBB27_1180
; %bb.1171:
	v_dual_add_nc_u32 v27, v53, v36 :: v_dual_mov_b32 v37, 1
	s_mov_b32 s29, 0
	s_mov_b32 s27, exec_lo
	s_delay_alu instid0(VALU_DEP_1) | instskip(NEXT) | instid1(VALU_DEP_1)
	v_mul_lo_u32 v36, 0x1388, v27
	v_cmpx_ne_u32_e32 0, v36
	s_cbranch_execz .LBB27_1177
; %bb.1172:
	v_mov_b32_e32 v37, 0
	v_mov_b64_e32 v[48:49], 1
	s_mov_b64 s[56:57], 0xbc8f
	s_mov_b64 s[40:41], 0xfffffffd
	s_mov_b64 s[42:43], 0xffffffff
	v_mov_b64_e32 v[38:39], v[36:37]
	s_mov_b64 s[46:47], 0x80000001
	s_mov_b32 s59, 0
	s_branch .LBB27_1174
.LBB27_1173:                            ;   in Loop: Header=BB27_1174 Depth=1
	s_or_b32 exec_lo, exec_lo, s28
	s_mul_u64 s[56:57], s[56:57], s[56:57]
	s_mov_b32 s61, s29
	s_and_b64 s[72:73], s[56:57], s[40:41]
	s_mov_b32 s28, s57
	s_mul_u64 s[74:75], s[72:73], 3
	s_mul_u64 s[76:77], s[28:29], 3
	s_mov_b32 s60, s75
	s_mul_u64 s[72:73], s[72:73], s[46:47]
	s_add_nc_u64 s[60:61], s[76:77], s[60:61]
	v_lshrrev_b64 v[54:55], 1, v[38:39]
	s_and_b64 s[76:77], s[60:61], s[42:43]
	s_mov_b32 s75, s29
	s_add_nc_u64 s[72:73], s[72:73], s[76:77]
	s_mov_b32 s79, s29
	s_mov_b32 s74, s61
	;; [unrolled: 1-line block ×3, first 2 shown]
	s_mul_u64 s[72:73], s[28:29], s[46:47]
	s_add_nc_u64 s[60:61], s[74:75], s[78:79]
	v_cmp_gt_u64_e32 vcc_lo, 2, v[38:39]
	s_add_nc_u64 s[60:61], s[72:73], s[60:61]
	v_mov_b64_e32 v[38:39], v[54:55]
	s_lshr_b64 s[60:61], s[60:61], 30
	s_delay_alu instid0(SALU_CYCLE_1)
	s_mul_u64 s[60:61], s[60:61], 0x7fffffff
	s_or_b32 s59, vcc_lo, s59
	s_sub_nc_u64 s[56:57], s[56:57], s[60:61]
	s_and_not1_b32 exec_lo, exec_lo, s59
	s_cbranch_execz .LBB27_1176
.LBB27_1174:                            ; =>This Inner Loop Header: Depth=1
	s_delay_alu instid0(VALU_DEP_1) | instskip(SKIP_1) | instid1(VALU_DEP_1)
	v_and_b32_e32 v27, 1, v38
	s_mov_b32 s28, exec_lo
	v_cmpx_eq_u32_e32 1, v27
	s_cbranch_execz .LBB27_1173
; %bb.1175:                             ;   in Loop: Header=BB27_1174 Depth=1
	v_mul_u64_e32 v[48:49], s[56:57], v[48:49]
	s_delay_alu instid0(VALU_DEP_1) | instskip(NEXT) | instid1(VALU_DEP_1)
	v_mov_b32_e32 v36, v48
	v_mul_u64_e32 v[54:55], 5, v[36:37]
	s_delay_alu instid0(VALU_DEP_1) | instskip(NEXT) | instid1(VALU_DEP_1)
	v_mov_b32_e32 v36, v55
	v_mad_nc_u64_u32 v[54:55], v49, 5, v[36:37]
	s_delay_alu instid0(VALU_DEP_1) | instskip(NEXT) | instid1(VALU_DEP_1)
	v_dual_mov_b32 v36, v55 :: v_dual_mov_b32 v55, v37
	v_mad_nc_u64_u32 v[54:55], v48, 2, v[54:55]
	s_delay_alu instid0(VALU_DEP_1) | instskip(NEXT) | instid1(VALU_DEP_1)
	v_dual_mov_b32 v54, v55 :: v_dual_mov_b32 v55, v37
	v_add_nc_u64_e32 v[54:55], v[36:37], v[54:55]
	s_delay_alu instid0(VALU_DEP_1) | instskip(NEXT) | instid1(VALU_DEP_1)
	v_mad_nc_u64_u32 v[54:55], v49, 2, v[54:55]
	v_sub_nc_u64_e32 v[64:65], v[48:49], v[54:55]
	s_delay_alu instid0(VALU_DEP_1) | instskip(NEXT) | instid1(VALU_DEP_1)
	v_lshrrev_b64 v[64:65], 1, v[64:65]
	v_add_nc_u64_e32 v[54:55], v[64:65], v[54:55]
	s_delay_alu instid0(VALU_DEP_1) | instskip(NEXT) | instid1(VALU_DEP_1)
	v_lshrrev_b64 v[54:55], 30, v[54:55]
	v_mul_u64_e32 v[54:55], 0x7fffffff, v[54:55]
	s_delay_alu instid0(VALU_DEP_1)
	v_sub_nc_u64_e32 v[48:49], v[48:49], v[54:55]
	s_branch .LBB27_1173
.LBB27_1176:
	s_or_b32 exec_lo, exec_lo, s59
	v_add_min_u32_e64 v27, 0x80000001, v48, v48
	s_delay_alu instid0(VALU_DEP_1)
	v_add_min_u32_e64 v37, 0x80000001, v27, v27
.LBB27_1177:
	s_or_b32 exec_lo, exec_lo, s27
	v_mov_b32_e32 v27, 0
	s_movk_i32 s29, 0x1388
	s_brev_b32 s40, 12
.LBB27_1178:                            ; =>This Inner Loop Header: Depth=1
	v_mul_hi_u32 v36, 0xbc8f1391, v37
	s_add_co_i32 s29, s29, -2
	s_delay_alu instid0(VALU_DEP_2) | instskip(SKIP_1) | instid1(VALU_DEP_2)
	v_add_f32_e32 v54, 1.0, v27
	s_cmp_lg_u32 s29, 0
	v_lshrrev_b32_e32 v36, 15, v36
	s_delay_alu instid0(VALU_DEP_1) | instskip(NEXT) | instid1(VALU_DEP_1)
	v_mul_u32_u24_e32 v38, 0xadc8, v36
	v_sub_nc_u32_e32 v37, v37, v38
	v_mul_u32_u24_e32 v36, 0xd47, v36
	s_delay_alu instid0(VALU_DEP_2) | instskip(NEXT) | instid1(VALU_DEP_2)
	v_mul_lo_u32 v37, 0xbc8f, v37
	v_xor_b32_e32 v38, 0x7fffffff, v36
	v_sub_nc_u32_e32 v39, 0, v36
	s_delay_alu instid0(VALU_DEP_3) | instskip(NEXT) | instid1(VALU_DEP_2)
	v_cmp_lt_u32_e32 vcc_lo, v37, v36
	v_cndmask_b32_e32 v36, v39, v38, vcc_lo
	s_delay_alu instid0(VALU_DEP_1) | instskip(NEXT) | instid1(VALU_DEP_1)
	v_add_nc_u32_e32 v36, v36, v37
	v_mul_hi_u32 v37, 0xbc8f1391, v36
	s_delay_alu instid0(VALU_DEP_1) | instskip(NEXT) | instid1(VALU_DEP_1)
	v_lshrrev_b32_e32 v37, 15, v37
	v_mul_u32_u24_e32 v38, 0xadc8, v37
	v_mul_u32_u24_e32 v37, 0xd47, v37
	s_delay_alu instid0(VALU_DEP_1) | instskip(SKIP_2) | instid1(VALU_DEP_3)
	v_dual_sub_nc_u32 v38, v36, v38 :: v_dual_sub_nc_u32 v48, 0, v37
	v_xor_b32_e32 v39, 0x7fffffff, v37
	v_add_nc_u32_e32 v36, -1, v36
	v_mul_lo_u32 v38, 0xbc8f, v38
	s_delay_alu instid0(VALU_DEP_1) | instskip(NEXT) | instid1(VALU_DEP_4)
	v_cmp_lt_u32_e32 vcc_lo, v38, v37
	v_cndmask_b32_e32 v37, v48, v39, vcc_lo
	s_delay_alu instid0(VALU_DEP_1) | instskip(NEXT) | instid1(VALU_DEP_1)
	v_add_nc_u32_e32 v37, v37, v38
	v_mul_hi_u32 v38, 0xbc8f1391, v37
	s_delay_alu instid0(VALU_DEP_1) | instskip(NEXT) | instid1(VALU_DEP_1)
	v_lshrrev_b32_e32 v38, 15, v38
	v_mul_u32_u24_e32 v39, 0xadc8, v38
	v_mul_u32_u24_e32 v38, 0xd47, v38
	s_delay_alu instid0(VALU_DEP_1) | instskip(SKIP_2) | instid1(VALU_DEP_3)
	v_dual_sub_nc_u32 v49, 0, v38 :: v_dual_sub_nc_u32 v39, v37, v39
	v_xor_b32_e32 v48, 0x7fffffff, v38
	v_add_nc_u32_e32 v37, -1, v37
	v_mul_lo_u32 v39, 0xbc8f, v39
	s_delay_alu instid0(VALU_DEP_1) | instskip(NEXT) | instid1(VALU_DEP_4)
	v_cmp_lt_u32_e32 vcc_lo, v39, v38
	v_cndmask_b32_e32 v38, v49, v48, vcc_lo
	s_delay_alu instid0(VALU_DEP_1) | instskip(NEXT) | instid1(VALU_DEP_1)
	v_add_nc_u32_e32 v48, v38, v39
	v_mul_hi_u32 v38, 0xbc8f1391, v48
	s_delay_alu instid0(VALU_DEP_1) | instskip(NEXT) | instid1(VALU_DEP_1)
	v_lshrrev_b32_e32 v38, 15, v38
	v_mul_u32_u24_e32 v39, 0xadc8, v38
	s_delay_alu instid0(VALU_DEP_1) | instskip(NEXT) | instid1(VALU_DEP_1)
	v_sub_nc_u32_e32 v39, v48, v39
	v_mul_lo_u32 v49, 0xbc8f, v39
	v_mul_u32_u24_e32 v39, 0xd47, v38
	v_cvt_f32_u32_e32 v38, v36
	s_delay_alu instid0(VALU_DEP_2) | instskip(SKIP_3) | instid1(VALU_DEP_3)
	v_xor_b32_e32 v36, 0x7fffffff, v39
	v_sub_nc_u32_e32 v55, 0, v39
	v_cmp_lt_u32_e32 vcc_lo, v49, v39
	v_cvt_f32_u32_e32 v39, v37
	v_cndmask_b32_e32 v36, v55, v36, vcc_lo
	s_delay_alu instid0(VALU_DEP_2) | instskip(NEXT) | instid1(VALU_DEP_2)
	v_pk_fma_f32 v[38:39], v[38:39], s[40:41], 0 op_sel_hi:[1,0,0]
	v_dual_add_nc_u32 v37, v36, v49 :: v_dual_add_nc_u32 v36, -1, v48
	s_delay_alu instid0(VALU_DEP_2) | instskip(NEXT) | instid1(VALU_DEP_2)
	v_pk_mul_f32 v[38:39], v[38:39], v[38:39]
	v_add_nc_u32_e32 v49, -1, v37
	s_delay_alu instid0(VALU_DEP_3) | instskip(NEXT) | instid1(VALU_DEP_3)
	v_cvt_f32_u32_e32 v48, v36
	v_add_f32_e32 v36, v38, v39
	s_delay_alu instid0(VALU_DEP_3) | instskip(NEXT) | instid1(VALU_DEP_2)
	v_cvt_f32_u32_e32 v49, v49
	v_cmp_gt_f32_e32 vcc_lo, 0xf800000, v36
	s_delay_alu instid0(VALU_DEP_2) | instskip(SKIP_1) | instid1(VALU_DEP_2)
	v_pk_fma_f32 v[38:39], v[48:49], s[40:41], 0 op_sel_hi:[1,0,0]
	v_mul_f32_e32 v48, 0x4f800000, v36
	v_pk_mul_f32 v[38:39], v[38:39], v[38:39]
	s_delay_alu instid0(VALU_DEP_1) | instskip(NEXT) | instid1(VALU_DEP_1)
	v_add_f32_e32 v38, v38, v39
	v_cmp_gt_f32_e64 s27, 0xf800000, v38
	s_delay_alu instid0(VALU_DEP_4) | instskip(SKIP_1) | instid1(VALU_DEP_1)
	v_cndmask_b32_e32 v36, v36, v48, vcc_lo
	v_mul_f32_e32 v48, 0x4f800000, v38
	v_cndmask_b32_e64 v38, v38, v48, s27
	s_delay_alu instid0(VALU_DEP_3) | instskip(NEXT) | instid1(VALU_DEP_1)
	v_sqrt_f32_e32 v39, v36
	v_sqrt_f32_e32 v64, v38
	s_delay_alu instid0(TRANS32_DEP_2) | instskip(NEXT) | instid1(VALU_DEP_1)
	v_dual_add_nc_u32 v49, -1, v39 :: v_dual_add_nc_u32 v48, 1, v39
	v_fma_f32 v55, -v49, v39, v36
	s_delay_alu instid0(VALU_DEP_1) | instskip(NEXT) | instid1(VALU_DEP_1)
	v_cmp_ge_f32_e64 s28, 0, v55
	v_dual_fma_f32 v65, -v48, v39, v36 :: v_dual_cndmask_b32 v39, v39, v49, s28
	s_delay_alu instid0(VALU_DEP_1) | instskip(NEXT) | instid1(TRANS32_DEP_1)
	v_cmp_lt_f32_e64 s28, 0, v65
	v_add_nc_u32_e32 v49, -1, v64
	s_delay_alu instid0(VALU_DEP_2) | instskip(NEXT) | instid1(VALU_DEP_2)
	v_cndmask_b32_e64 v39, v39, v48, s28
	v_dual_add_nc_u32 v48, 1, v64 :: v_dual_fma_f32 v55, -v49, v64, v38
	s_delay_alu instid0(VALU_DEP_1) | instskip(NEXT) | instid1(VALU_DEP_1)
	v_cmp_ge_f32_e64 s28, 0, v55
	v_cndmask_b32_e64 v49, v64, v49, s28
	s_delay_alu instid0(VALU_DEP_4) | instskip(NEXT) | instid1(VALU_DEP_1)
	v_mul_f32_e32 v65, 0x37800000, v39
	v_cndmask_b32_e32 v39, v39, v65, vcc_lo
	v_cmp_class_f32_e64 vcc_lo, v36, 0x260
	s_delay_alu instid0(VALU_DEP_2) | instskip(NEXT) | instid1(VALU_DEP_1)
	v_cndmask_b32_e32 v36, v39, v36, vcc_lo
	v_cmp_nge_f32_e32 vcc_lo, 1.0, v36
	s_delay_alu instid0(VALU_DEP_3) | instskip(NEXT) | instid1(VALU_DEP_1)
	v_dual_fma_f32 v66, -v48, v64, v38 :: v_dual_cndmask_b32 v27, v54, v27, vcc_lo
	v_cmp_lt_f32_e64 s28, 0, v66
	v_cmp_class_f32_e64 vcc_lo, v38, 0x260
	s_delay_alu instid0(VALU_DEP_2) | instskip(NEXT) | instid1(VALU_DEP_1)
	v_cndmask_b32_e64 v48, v49, v48, s28
	v_mul_f32_e32 v39, 0x37800000, v48
	s_delay_alu instid0(VALU_DEP_1) | instskip(NEXT) | instid1(VALU_DEP_1)
	v_cndmask_b32_e64 v36, v48, v39, s27
	v_dual_add_f32 v39, 1.0, v27 :: v_dual_cndmask_b32 v36, v36, v38
	s_delay_alu instid0(VALU_DEP_1) | instskip(NEXT) | instid1(VALU_DEP_2)
	v_cmp_nge_f32_e32 vcc_lo, 1.0, v36
	v_cndmask_b32_e32 v27, v39, v27, vcc_lo
	s_cbranch_scc1 .LBB27_1178
; %bb.1179:
	s_delay_alu instid0(VALU_DEP_1) | instskip(NEXT) | instid1(VALU_DEP_1)
	v_mul_f32_e32 v27, 4.0, v27
	v_div_scale_f32 v36, null, 0x459c4000, 0x459c4000, v27
	s_delay_alu instid0(VALU_DEP_1) | instskip(SKIP_1) | instid1(TRANS32_DEP_1)
	v_rcp_f32_e32 v37, v36
	v_nop
	v_fma_f32 v38, -v36, v37, 1.0
	s_delay_alu instid0(VALU_DEP_1) | instskip(SKIP_1) | instid1(VALU_DEP_1)
	v_fmac_f32_e32 v37, v38, v37
	v_div_scale_f32 v38, vcc_lo, v27, 0x459c4000, v27
	v_mul_f32_e32 v39, v38, v37
	s_delay_alu instid0(VALU_DEP_1) | instskip(NEXT) | instid1(VALU_DEP_1)
	v_fma_f32 v48, -v36, v39, v38
	v_fmac_f32_e32 v39, v48, v37
	s_delay_alu instid0(VALU_DEP_1) | instskip(NEXT) | instid1(VALU_DEP_1)
	v_fma_f32 v36, -v36, v39, v38
	v_div_fmas_f32 v36, v36, v37, v39
	s_delay_alu instid0(VALU_DEP_1)
	v_div_fixup_f32 v27, v36, 0x459c4000, v27
.LBB27_1180:
	s_or_b32 exec_lo, exec_lo, s58
	v_or_b32_e32 v36, 0x1c00, v50
	s_delay_alu instid0(VALU_DEP_1)
	v_cmp_lt_u32_e64 s27, v36, v52
	s_and_saveexec_b32 s58, s27
	s_cbranch_execz .LBB27_1190
; %bb.1181:
	v_dual_mov_b32 v37, 1 :: v_dual_add_nc_u32 v28, v53, v36
	s_mov_b32 s29, 0
	s_mov_b32 s59, exec_lo
	s_delay_alu instid0(VALU_DEP_1) | instskip(NEXT) | instid1(VALU_DEP_1)
	v_mul_lo_u32 v36, 0x1388, v28
	v_cmpx_ne_u32_e32 0, v36
	s_cbranch_execz .LBB27_1187
; %bb.1182:
	v_mov_b32_e32 v37, 0
	v_mov_b64_e32 v[48:49], 1
	s_mov_b64 s[56:57], 0xbc8f
	s_mov_b64 s[40:41], 0xfffffffd
	;; [unrolled: 1-line block ×3, first 2 shown]
	v_mov_b64_e32 v[38:39], v[36:37]
	s_mov_b64 s[46:47], 0x80000001
	s_mov_b32 s60, 0
	s_branch .LBB27_1184
.LBB27_1183:                            ;   in Loop: Header=BB27_1184 Depth=1
	s_or_b32 exec_lo, exec_lo, s28
	s_mul_u64 s[56:57], s[56:57], s[56:57]
	s_mov_b32 s73, s29
	s_and_b64 s[74:75], s[56:57], s[40:41]
	s_mov_b32 s28, s57
	s_mul_u64 s[76:77], s[74:75], 3
	s_mul_u64 s[78:79], s[28:29], 3
	s_mov_b32 s72, s77
	s_mul_u64 s[74:75], s[74:75], s[46:47]
	s_add_nc_u64 s[72:73], s[78:79], s[72:73]
	v_lshrrev_b64 v[54:55], 1, v[38:39]
	s_and_b64 s[78:79], s[72:73], s[42:43]
	s_mov_b32 s77, s29
	s_add_nc_u64 s[74:75], s[74:75], s[78:79]
	s_mov_b32 s89, s29
	s_mov_b32 s76, s73
	s_mov_b32 s88, s75
	s_mul_u64 s[74:75], s[28:29], s[46:47]
	s_add_nc_u64 s[72:73], s[76:77], s[88:89]
	v_cmp_gt_u64_e32 vcc_lo, 2, v[38:39]
	s_add_nc_u64 s[72:73], s[74:75], s[72:73]
	v_mov_b64_e32 v[38:39], v[54:55]
	s_lshr_b64 s[72:73], s[72:73], 30
	s_delay_alu instid0(SALU_CYCLE_1)
	s_mul_u64 s[72:73], s[72:73], 0x7fffffff
	s_or_b32 s60, vcc_lo, s60
	s_sub_nc_u64 s[56:57], s[56:57], s[72:73]
	s_and_not1_b32 exec_lo, exec_lo, s60
	s_cbranch_execz .LBB27_1186
.LBB27_1184:                            ; =>This Inner Loop Header: Depth=1
	s_delay_alu instid0(VALU_DEP_1) | instskip(SKIP_1) | instid1(VALU_DEP_1)
	v_and_b32_e32 v28, 1, v38
	s_mov_b32 s28, exec_lo
	v_cmpx_eq_u32_e32 1, v28
	s_cbranch_execz .LBB27_1183
; %bb.1185:                             ;   in Loop: Header=BB27_1184 Depth=1
	v_mul_u64_e32 v[48:49], s[56:57], v[48:49]
	s_delay_alu instid0(VALU_DEP_1) | instskip(NEXT) | instid1(VALU_DEP_1)
	v_mov_b32_e32 v36, v48
	v_mul_u64_e32 v[54:55], 5, v[36:37]
	s_delay_alu instid0(VALU_DEP_1) | instskip(NEXT) | instid1(VALU_DEP_1)
	v_mov_b32_e32 v36, v55
	v_mad_nc_u64_u32 v[54:55], v49, 5, v[36:37]
	s_delay_alu instid0(VALU_DEP_1) | instskip(NEXT) | instid1(VALU_DEP_1)
	v_dual_mov_b32 v36, v55 :: v_dual_mov_b32 v55, v37
	v_mad_nc_u64_u32 v[54:55], v48, 2, v[54:55]
	s_delay_alu instid0(VALU_DEP_1) | instskip(NEXT) | instid1(VALU_DEP_1)
	v_dual_mov_b32 v54, v55 :: v_dual_mov_b32 v55, v37
	v_add_nc_u64_e32 v[54:55], v[36:37], v[54:55]
	s_delay_alu instid0(VALU_DEP_1) | instskip(NEXT) | instid1(VALU_DEP_1)
	v_mad_nc_u64_u32 v[54:55], v49, 2, v[54:55]
	v_sub_nc_u64_e32 v[64:65], v[48:49], v[54:55]
	s_delay_alu instid0(VALU_DEP_1) | instskip(NEXT) | instid1(VALU_DEP_1)
	v_lshrrev_b64 v[64:65], 1, v[64:65]
	v_add_nc_u64_e32 v[54:55], v[64:65], v[54:55]
	s_delay_alu instid0(VALU_DEP_1) | instskip(NEXT) | instid1(VALU_DEP_1)
	v_lshrrev_b64 v[54:55], 30, v[54:55]
	v_mul_u64_e32 v[54:55], 0x7fffffff, v[54:55]
	s_delay_alu instid0(VALU_DEP_1)
	v_sub_nc_u64_e32 v[48:49], v[48:49], v[54:55]
	s_branch .LBB27_1183
.LBB27_1186:
	s_or_b32 exec_lo, exec_lo, s60
	v_add_min_u32_e64 v28, 0x80000001, v48, v48
	s_delay_alu instid0(VALU_DEP_1)
	v_add_min_u32_e64 v37, 0x80000001, v28, v28
.LBB27_1187:
	s_or_b32 exec_lo, exec_lo, s59
	v_mov_b32_e32 v28, 0
	s_movk_i32 s41, 0x1388
	s_brev_b32 s40, 12
.LBB27_1188:                            ; =>This Inner Loop Header: Depth=1
	v_mul_hi_u32 v36, 0xbc8f1391, v37
	s_delay_alu instid0(VALU_DEP_2) | instskip(NEXT) | instid1(VALU_DEP_2)
	v_add_f32_e32 v54, 1.0, v28
	v_lshrrev_b32_e32 v36, 15, v36
	s_delay_alu instid0(VALU_DEP_1) | instskip(NEXT) | instid1(VALU_DEP_1)
	v_mul_u32_u24_e32 v38, 0xadc8, v36
	v_sub_nc_u32_e32 v37, v37, v38
	v_mul_u32_u24_e32 v36, 0xd47, v36
	s_delay_alu instid0(VALU_DEP_2) | instskip(NEXT) | instid1(VALU_DEP_2)
	v_mul_lo_u32 v37, 0xbc8f, v37
	v_xor_b32_e32 v38, 0x7fffffff, v36
	v_sub_nc_u32_e32 v39, 0, v36
	s_delay_alu instid0(VALU_DEP_3) | instskip(NEXT) | instid1(VALU_DEP_2)
	v_cmp_lt_u32_e32 vcc_lo, v37, v36
	v_cndmask_b32_e32 v36, v39, v38, vcc_lo
	s_delay_alu instid0(VALU_DEP_1) | instskip(NEXT) | instid1(VALU_DEP_1)
	v_add_nc_u32_e32 v36, v36, v37
	v_mul_hi_u32 v37, 0xbc8f1391, v36
	s_delay_alu instid0(VALU_DEP_1) | instskip(NEXT) | instid1(VALU_DEP_1)
	v_lshrrev_b32_e32 v37, 15, v37
	v_mul_u32_u24_e32 v38, 0xadc8, v37
	v_mul_u32_u24_e32 v37, 0xd47, v37
	s_delay_alu instid0(VALU_DEP_1) | instskip(SKIP_1) | instid1(VALU_DEP_2)
	v_dual_sub_nc_u32 v38, v36, v38 :: v_dual_sub_nc_u32 v48, 0, v37
	v_xor_b32_e32 v39, 0x7fffffff, v37
	v_mul_lo_u32 v38, 0xbc8f, v38
	s_delay_alu instid0(VALU_DEP_1) | instskip(NEXT) | instid1(VALU_DEP_3)
	v_cmp_lt_u32_e32 vcc_lo, v38, v37
	v_cndmask_b32_e32 v37, v48, v39, vcc_lo
	s_delay_alu instid0(VALU_DEP_1) | instskip(NEXT) | instid1(VALU_DEP_1)
	v_add_nc_u32_e32 v37, v37, v38
	v_mul_hi_u32 v38, 0xbc8f1391, v37
	s_delay_alu instid0(VALU_DEP_1) | instskip(NEXT) | instid1(VALU_DEP_1)
	v_lshrrev_b32_e32 v38, 15, v38
	v_mul_u32_u24_e32 v39, 0xadc8, v38
	v_mul_u32_u24_e32 v38, 0xd47, v38
	s_delay_alu instid0(VALU_DEP_1) | instskip(SKIP_1) | instid1(VALU_DEP_2)
	v_dual_sub_nc_u32 v49, 0, v38 :: v_dual_sub_nc_u32 v39, v37, v39
	v_xor_b32_e32 v48, 0x7fffffff, v38
	v_mul_lo_u32 v39, 0xbc8f, v39
	s_delay_alu instid0(VALU_DEP_1) | instskip(NEXT) | instid1(VALU_DEP_3)
	v_cmp_lt_u32_e32 vcc_lo, v39, v38
	v_cndmask_b32_e32 v38, v49, v48, vcc_lo
	s_delay_alu instid0(VALU_DEP_1) | instskip(NEXT) | instid1(VALU_DEP_1)
	v_add_nc_u32_e32 v48, v38, v39
	v_mul_hi_u32 v38, 0xbc8f1391, v48
	s_delay_alu instid0(VALU_DEP_1) | instskip(NEXT) | instid1(VALU_DEP_1)
	v_lshrrev_b32_e32 v38, 15, v38
	v_mul_u32_u24_e32 v39, 0xadc8, v38
	s_delay_alu instid0(VALU_DEP_1) | instskip(NEXT) | instid1(VALU_DEP_1)
	v_sub_nc_u32_e32 v39, v48, v39
	v_mul_lo_u32 v49, 0xbc8f, v39
	v_mul_u32_u24_e32 v39, 0xd47, v38
	s_delay_alu instid0(VALU_DEP_1) | instskip(NEXT) | instid1(VALU_DEP_1)
	v_dual_add_nc_u32 v36, -1, v36 :: v_dual_sub_nc_u32 v55, 0, v39
	v_cvt_f32_u32_e32 v38, v36
	v_xor_b32_e32 v36, 0x7fffffff, v39
	v_cmp_lt_u32_e32 vcc_lo, v49, v39
	s_delay_alu instid0(VALU_DEP_2) | instskip(NEXT) | instid1(VALU_DEP_1)
	v_dual_cndmask_b32 v36, v55, v36 :: v_dual_add_nc_u32 v37, -1, v37
	v_cvt_f32_u32_e32 v39, v37
	s_delay_alu instid0(VALU_DEP_2) | instskip(NEXT) | instid1(VALU_DEP_2)
	v_dual_add_nc_u32 v37, v36, v49 :: v_dual_add_nc_u32 v36, -1, v48
	v_pk_fma_f32 v[38:39], v[38:39], s[40:41], 0 op_sel_hi:[1,0,0]
	s_delay_alu instid0(VALU_DEP_2) | instskip(NEXT) | instid1(VALU_DEP_2)
	v_cvt_f32_u32_e32 v48, v36
	v_pk_mul_f32 v[38:39], v[38:39], v[38:39]
	s_delay_alu instid0(VALU_DEP_1) | instskip(NEXT) | instid1(VALU_DEP_1)
	v_dual_add_f32 v36, v38, v39 :: v_dual_add_nc_u32 v49, -1, v37
	v_cvt_f32_u32_e32 v49, v49
	s_delay_alu instid0(VALU_DEP_2) | instskip(NEXT) | instid1(VALU_DEP_2)
	v_cmp_gt_f32_e32 vcc_lo, 0xf800000, v36
	v_pk_fma_f32 v[38:39], v[48:49], s[40:41], 0 op_sel_hi:[1,0,0]
	v_mul_f32_e32 v48, 0x4f800000, v36
	s_add_co_i32 s41, s41, -2
	s_delay_alu instid0(SALU_CYCLE_1) | instskip(NEXT) | instid1(VALU_DEP_2)
	s_cmp_lg_u32 s41, 0
	v_pk_mul_f32 v[38:39], v[38:39], v[38:39]
	s_delay_alu instid0(VALU_DEP_1) | instskip(NEXT) | instid1(VALU_DEP_1)
	v_dual_cndmask_b32 v36, v36, v48, vcc_lo :: v_dual_add_f32 v38, v38, v39
	v_sqrt_f32_e32 v39, v36
	s_delay_alu instid0(VALU_DEP_1)
	v_mul_f32_e32 v48, 0x4f800000, v38
	v_cmp_gt_f32_e64 s28, 0xf800000, v38
	s_delay_alu instid0(TRANS32_DEP_1) | instid1(VALU_DEP_1)
	v_dual_add_nc_u32 v49, -1, v39 :: v_dual_cndmask_b32 v38, v38, v48, s28
	s_delay_alu instid0(VALU_DEP_1) | instskip(NEXT) | instid1(VALU_DEP_2)
	v_dual_add_nc_u32 v48, 1, v39 :: v_dual_fma_f32 v55, -v49, v39, v36
	v_sqrt_f32_e32 v64, v38
	s_delay_alu instid0(VALU_DEP_1) | instskip(NEXT) | instid1(VALU_DEP_2)
	v_fma_f32 v65, -v48, v39, v36
	v_cmp_ge_f32_e64 s29, 0, v55
	s_delay_alu instid0(VALU_DEP_1) | instskip(NEXT) | instid1(VALU_DEP_3)
	v_cndmask_b32_e64 v39, v39, v49, s29
	v_cmp_lt_f32_e64 s29, 0, v65
	s_delay_alu instid0(TRANS32_DEP_1) | instskip(NEXT) | instid1(VALU_DEP_2)
	v_add_nc_u32_e32 v49, -1, v64
	v_cndmask_b32_e64 v39, v39, v48, s29
	s_delay_alu instid0(VALU_DEP_2) | instskip(NEXT) | instid1(VALU_DEP_1)
	v_dual_add_nc_u32 v48, 1, v64 :: v_dual_fma_f32 v55, -v49, v64, v38
	v_fma_f32 v66, -v48, v64, v38
	s_delay_alu instid0(VALU_DEP_2) | instskip(NEXT) | instid1(VALU_DEP_1)
	v_cmp_ge_f32_e64 s29, 0, v55
	v_cndmask_b32_e64 v49, v64, v49, s29
	v_mul_f32_e32 v65, 0x37800000, v39
	s_delay_alu instid0(VALU_DEP_4) | instskip(NEXT) | instid1(VALU_DEP_1)
	v_cmp_lt_f32_e64 s29, 0, v66
	v_dual_cndmask_b32 v39, v39, v65, vcc_lo :: v_dual_cndmask_b32 v48, v49, v48, s29
	v_cmp_class_f32_e64 vcc_lo, v36, 0x260
	s_delay_alu instid0(VALU_DEP_2) | instskip(NEXT) | instid1(VALU_DEP_1)
	v_cndmask_b32_e32 v36, v39, v36, vcc_lo
	v_cmp_nge_f32_e32 vcc_lo, 1.0, v36
	v_cndmask_b32_e32 v28, v54, v28, vcc_lo
	v_cmp_class_f32_e64 vcc_lo, v38, 0x260
	v_mul_f32_e32 v39, 0x37800000, v48
	s_delay_alu instid0(VALU_DEP_1) | instskip(NEXT) | instid1(VALU_DEP_1)
	v_dual_cndmask_b32 v36, v48, v39, s28 :: v_dual_add_f32 v39, 1.0, v28
	v_cndmask_b32_e32 v36, v36, v38, vcc_lo
	s_delay_alu instid0(VALU_DEP_1) | instskip(NEXT) | instid1(VALU_DEP_3)
	v_cmp_nge_f32_e32 vcc_lo, 1.0, v36
	v_cndmask_b32_e32 v28, v39, v28, vcc_lo
	s_cbranch_scc1 .LBB27_1188
; %bb.1189:
	s_delay_alu instid0(VALU_DEP_1) | instskip(NEXT) | instid1(VALU_DEP_1)
	v_mul_f32_e32 v28, 4.0, v28
	v_div_scale_f32 v36, null, 0x459c4000, 0x459c4000, v28
	s_delay_alu instid0(VALU_DEP_1) | instskip(SKIP_1) | instid1(TRANS32_DEP_1)
	v_rcp_f32_e32 v37, v36
	v_nop
	v_fma_f32 v38, -v36, v37, 1.0
	s_delay_alu instid0(VALU_DEP_1) | instskip(SKIP_1) | instid1(VALU_DEP_1)
	v_fmac_f32_e32 v37, v38, v37
	v_div_scale_f32 v38, vcc_lo, v28, 0x459c4000, v28
	v_mul_f32_e32 v39, v38, v37
	s_delay_alu instid0(VALU_DEP_1) | instskip(NEXT) | instid1(VALU_DEP_1)
	v_fma_f32 v48, -v36, v39, v38
	v_fmac_f32_e32 v39, v48, v37
	s_delay_alu instid0(VALU_DEP_1) | instskip(NEXT) | instid1(VALU_DEP_1)
	v_fma_f32 v36, -v36, v39, v38
	v_div_fmas_f32 v36, v36, v37, v39
	s_delay_alu instid0(VALU_DEP_1)
	v_div_fixup_f32 v28, v36, 0x459c4000, v28
.LBB27_1190:
	s_or_b32 exec_lo, exec_lo, s58
	v_add_nc_u32_e32 v36, 0x1d00, v50
	s_delay_alu instid0(VALU_DEP_1)
	v_cmp_lt_u32_e64 s28, v36, v52
	s_and_saveexec_b32 s60, s28
	s_cbranch_execz .LBB27_1200
; %bb.1191:
	v_dual_add_nc_u32 v29, v53, v36 :: v_dual_mov_b32 v37, 1
	s_mov_b32 s41, 0
	s_mov_b32 s29, exec_lo
	s_delay_alu instid0(VALU_DEP_1) | instskip(NEXT) | instid1(VALU_DEP_1)
	v_mul_lo_u32 v36, 0x1388, v29
	v_cmpx_ne_u32_e32 0, v36
	s_cbranch_execz .LBB27_1197
; %bb.1192:
	v_mov_b32_e32 v37, 0
	v_mov_b64_e32 v[48:49], 1
	s_mov_b64 s[58:59], 0xbc8f
	s_mov_b64 s[42:43], 0xfffffffd
	;; [unrolled: 1-line block ×3, first 2 shown]
	v_mov_b64_e32 v[38:39], v[36:37]
	s_mov_b64 s[56:57], 0x80000001
	s_mov_b32 s61, 0
	s_branch .LBB27_1194
.LBB27_1193:                            ;   in Loop: Header=BB27_1194 Depth=1
	s_or_b32 exec_lo, exec_lo, s40
	s_mul_u64 s[58:59], s[58:59], s[58:59]
	s_mov_b32 s73, s41
	s_and_b64 s[74:75], s[58:59], s[42:43]
	s_mov_b32 s40, s59
	s_mul_u64 s[76:77], s[74:75], 3
	s_mul_u64 s[78:79], s[40:41], 3
	s_mov_b32 s72, s77
	s_mul_u64 s[74:75], s[74:75], s[56:57]
	s_add_nc_u64 s[72:73], s[78:79], s[72:73]
	v_lshrrev_b64 v[54:55], 1, v[38:39]
	s_and_b64 s[78:79], s[72:73], s[46:47]
	s_mov_b32 s77, s41
	s_add_nc_u64 s[74:75], s[74:75], s[78:79]
	s_mov_b32 s89, s41
	s_mov_b32 s76, s73
	;; [unrolled: 1-line block ×3, first 2 shown]
	s_mul_u64 s[74:75], s[40:41], s[56:57]
	s_add_nc_u64 s[72:73], s[76:77], s[88:89]
	v_cmp_gt_u64_e32 vcc_lo, 2, v[38:39]
	s_add_nc_u64 s[72:73], s[74:75], s[72:73]
	v_mov_b64_e32 v[38:39], v[54:55]
	s_lshr_b64 s[72:73], s[72:73], 30
	s_delay_alu instid0(SALU_CYCLE_1)
	s_mul_u64 s[72:73], s[72:73], 0x7fffffff
	s_or_b32 s61, vcc_lo, s61
	s_sub_nc_u64 s[58:59], s[58:59], s[72:73]
	s_and_not1_b32 exec_lo, exec_lo, s61
	s_cbranch_execz .LBB27_1196
.LBB27_1194:                            ; =>This Inner Loop Header: Depth=1
	s_delay_alu instid0(VALU_DEP_1) | instskip(SKIP_1) | instid1(VALU_DEP_1)
	v_and_b32_e32 v29, 1, v38
	s_mov_b32 s40, exec_lo
	v_cmpx_eq_u32_e32 1, v29
	s_cbranch_execz .LBB27_1193
; %bb.1195:                             ;   in Loop: Header=BB27_1194 Depth=1
	v_mul_u64_e32 v[48:49], s[58:59], v[48:49]
	s_delay_alu instid0(VALU_DEP_1) | instskip(NEXT) | instid1(VALU_DEP_1)
	v_mov_b32_e32 v36, v48
	v_mul_u64_e32 v[54:55], 5, v[36:37]
	s_delay_alu instid0(VALU_DEP_1) | instskip(NEXT) | instid1(VALU_DEP_1)
	v_mov_b32_e32 v36, v55
	v_mad_nc_u64_u32 v[54:55], v49, 5, v[36:37]
	s_delay_alu instid0(VALU_DEP_1) | instskip(NEXT) | instid1(VALU_DEP_1)
	v_dual_mov_b32 v36, v55 :: v_dual_mov_b32 v55, v37
	v_mad_nc_u64_u32 v[54:55], v48, 2, v[54:55]
	s_delay_alu instid0(VALU_DEP_1) | instskip(NEXT) | instid1(VALU_DEP_1)
	v_dual_mov_b32 v54, v55 :: v_dual_mov_b32 v55, v37
	v_add_nc_u64_e32 v[54:55], v[36:37], v[54:55]
	s_delay_alu instid0(VALU_DEP_1) | instskip(NEXT) | instid1(VALU_DEP_1)
	v_mad_nc_u64_u32 v[54:55], v49, 2, v[54:55]
	v_sub_nc_u64_e32 v[64:65], v[48:49], v[54:55]
	s_delay_alu instid0(VALU_DEP_1) | instskip(NEXT) | instid1(VALU_DEP_1)
	v_lshrrev_b64 v[64:65], 1, v[64:65]
	v_add_nc_u64_e32 v[54:55], v[64:65], v[54:55]
	s_delay_alu instid0(VALU_DEP_1) | instskip(NEXT) | instid1(VALU_DEP_1)
	v_lshrrev_b64 v[54:55], 30, v[54:55]
	v_mul_u64_e32 v[54:55], 0x7fffffff, v[54:55]
	s_delay_alu instid0(VALU_DEP_1)
	v_sub_nc_u64_e32 v[48:49], v[48:49], v[54:55]
	s_branch .LBB27_1193
.LBB27_1196:
	s_or_b32 exec_lo, exec_lo, s61
	v_add_min_u32_e64 v29, 0x80000001, v48, v48
	s_delay_alu instid0(VALU_DEP_1)
	v_add_min_u32_e64 v37, 0x80000001, v29, v29
.LBB27_1197:
	s_or_b32 exec_lo, exec_lo, s29
	v_mov_b32_e32 v29, 0
	s_movk_i32 s41, 0x1388
	s_brev_b32 s42, 12
.LBB27_1198:                            ; =>This Inner Loop Header: Depth=1
	v_mul_hi_u32 v36, 0xbc8f1391, v37
	s_add_co_i32 s41, s41, -2
	s_delay_alu instid0(VALU_DEP_2) | instskip(SKIP_1) | instid1(VALU_DEP_2)
	v_add_f32_e32 v54, 1.0, v29
	s_cmp_lg_u32 s41, 0
	v_lshrrev_b32_e32 v36, 15, v36
	s_delay_alu instid0(VALU_DEP_1) | instskip(NEXT) | instid1(VALU_DEP_1)
	v_mul_u32_u24_e32 v38, 0xadc8, v36
	v_sub_nc_u32_e32 v37, v37, v38
	v_mul_u32_u24_e32 v36, 0xd47, v36
	s_delay_alu instid0(VALU_DEP_2) | instskip(NEXT) | instid1(VALU_DEP_2)
	v_mul_lo_u32 v37, 0xbc8f, v37
	v_xor_b32_e32 v38, 0x7fffffff, v36
	v_sub_nc_u32_e32 v39, 0, v36
	s_delay_alu instid0(VALU_DEP_3) | instskip(NEXT) | instid1(VALU_DEP_2)
	v_cmp_lt_u32_e32 vcc_lo, v37, v36
	v_cndmask_b32_e32 v36, v39, v38, vcc_lo
	s_delay_alu instid0(VALU_DEP_1) | instskip(NEXT) | instid1(VALU_DEP_1)
	v_add_nc_u32_e32 v36, v36, v37
	v_mul_hi_u32 v37, 0xbc8f1391, v36
	s_delay_alu instid0(VALU_DEP_1) | instskip(NEXT) | instid1(VALU_DEP_1)
	v_lshrrev_b32_e32 v37, 15, v37
	v_mul_u32_u24_e32 v38, 0xadc8, v37
	v_mul_u32_u24_e32 v37, 0xd47, v37
	s_delay_alu instid0(VALU_DEP_1) | instskip(SKIP_2) | instid1(VALU_DEP_3)
	v_dual_sub_nc_u32 v38, v36, v38 :: v_dual_sub_nc_u32 v48, 0, v37
	v_xor_b32_e32 v39, 0x7fffffff, v37
	v_add_nc_u32_e32 v36, -1, v36
	v_mul_lo_u32 v38, 0xbc8f, v38
	s_delay_alu instid0(VALU_DEP_1) | instskip(NEXT) | instid1(VALU_DEP_4)
	v_cmp_lt_u32_e32 vcc_lo, v38, v37
	v_cndmask_b32_e32 v37, v48, v39, vcc_lo
	s_delay_alu instid0(VALU_DEP_1) | instskip(NEXT) | instid1(VALU_DEP_1)
	v_add_nc_u32_e32 v37, v37, v38
	v_mul_hi_u32 v38, 0xbc8f1391, v37
	s_delay_alu instid0(VALU_DEP_1) | instskip(NEXT) | instid1(VALU_DEP_1)
	v_lshrrev_b32_e32 v38, 15, v38
	v_mul_u32_u24_e32 v39, 0xadc8, v38
	v_mul_u32_u24_e32 v38, 0xd47, v38
	s_delay_alu instid0(VALU_DEP_1) | instskip(SKIP_2) | instid1(VALU_DEP_3)
	v_dual_sub_nc_u32 v49, 0, v38 :: v_dual_sub_nc_u32 v39, v37, v39
	v_xor_b32_e32 v48, 0x7fffffff, v38
	v_add_nc_u32_e32 v37, -1, v37
	v_mul_lo_u32 v39, 0xbc8f, v39
	s_delay_alu instid0(VALU_DEP_1) | instskip(NEXT) | instid1(VALU_DEP_4)
	v_cmp_lt_u32_e32 vcc_lo, v39, v38
	v_cndmask_b32_e32 v38, v49, v48, vcc_lo
	s_delay_alu instid0(VALU_DEP_1) | instskip(NEXT) | instid1(VALU_DEP_1)
	v_add_nc_u32_e32 v48, v38, v39
	v_mul_hi_u32 v38, 0xbc8f1391, v48
	s_delay_alu instid0(VALU_DEP_1) | instskip(NEXT) | instid1(VALU_DEP_1)
	v_lshrrev_b32_e32 v38, 15, v38
	v_mul_u32_u24_e32 v39, 0xadc8, v38
	s_delay_alu instid0(VALU_DEP_1) | instskip(NEXT) | instid1(VALU_DEP_1)
	v_sub_nc_u32_e32 v39, v48, v39
	v_mul_lo_u32 v49, 0xbc8f, v39
	v_mul_u32_u24_e32 v39, 0xd47, v38
	v_cvt_f32_u32_e32 v38, v36
	s_delay_alu instid0(VALU_DEP_2) | instskip(SKIP_3) | instid1(VALU_DEP_3)
	v_xor_b32_e32 v36, 0x7fffffff, v39
	v_sub_nc_u32_e32 v55, 0, v39
	v_cmp_lt_u32_e32 vcc_lo, v49, v39
	v_cvt_f32_u32_e32 v39, v37
	v_cndmask_b32_e32 v36, v55, v36, vcc_lo
	s_delay_alu instid0(VALU_DEP_2) | instskip(NEXT) | instid1(VALU_DEP_2)
	v_pk_fma_f32 v[38:39], v[38:39], s[42:43], 0 op_sel_hi:[1,0,0]
	v_dual_add_nc_u32 v37, v36, v49 :: v_dual_add_nc_u32 v36, -1, v48
	s_delay_alu instid0(VALU_DEP_2) | instskip(NEXT) | instid1(VALU_DEP_2)
	v_pk_mul_f32 v[38:39], v[38:39], v[38:39]
	v_add_nc_u32_e32 v49, -1, v37
	s_delay_alu instid0(VALU_DEP_3) | instskip(NEXT) | instid1(VALU_DEP_3)
	v_cvt_f32_u32_e32 v48, v36
	v_add_f32_e32 v36, v38, v39
	s_delay_alu instid0(VALU_DEP_3) | instskip(NEXT) | instid1(VALU_DEP_2)
	v_cvt_f32_u32_e32 v49, v49
	v_cmp_gt_f32_e32 vcc_lo, 0xf800000, v36
	s_delay_alu instid0(VALU_DEP_2) | instskip(SKIP_1) | instid1(VALU_DEP_2)
	v_pk_fma_f32 v[38:39], v[48:49], s[42:43], 0 op_sel_hi:[1,0,0]
	v_mul_f32_e32 v48, 0x4f800000, v36
	v_pk_mul_f32 v[38:39], v[38:39], v[38:39]
	s_delay_alu instid0(VALU_DEP_1) | instskip(NEXT) | instid1(VALU_DEP_1)
	v_add_f32_e32 v38, v38, v39
	v_cmp_gt_f32_e64 s29, 0xf800000, v38
	s_delay_alu instid0(VALU_DEP_4) | instskip(SKIP_1) | instid1(VALU_DEP_1)
	v_cndmask_b32_e32 v36, v36, v48, vcc_lo
	v_mul_f32_e32 v48, 0x4f800000, v38
	v_cndmask_b32_e64 v38, v38, v48, s29
	s_delay_alu instid0(VALU_DEP_3) | instskip(NEXT) | instid1(VALU_DEP_1)
	v_sqrt_f32_e32 v39, v36
	v_sqrt_f32_e32 v64, v38
	s_delay_alu instid0(TRANS32_DEP_2) | instskip(NEXT) | instid1(VALU_DEP_1)
	v_dual_add_nc_u32 v49, -1, v39 :: v_dual_add_nc_u32 v48, 1, v39
	v_fma_f32 v55, -v49, v39, v36
	s_delay_alu instid0(VALU_DEP_1) | instskip(NEXT) | instid1(VALU_DEP_1)
	v_cmp_ge_f32_e64 s40, 0, v55
	v_dual_fma_f32 v65, -v48, v39, v36 :: v_dual_cndmask_b32 v39, v39, v49, s40
	s_delay_alu instid0(VALU_DEP_1) | instskip(NEXT) | instid1(TRANS32_DEP_1)
	v_cmp_lt_f32_e64 s40, 0, v65
	v_add_nc_u32_e32 v49, -1, v64
	s_delay_alu instid0(VALU_DEP_2) | instskip(NEXT) | instid1(VALU_DEP_2)
	v_cndmask_b32_e64 v39, v39, v48, s40
	v_dual_add_nc_u32 v48, 1, v64 :: v_dual_fma_f32 v55, -v49, v64, v38
	s_delay_alu instid0(VALU_DEP_1) | instskip(NEXT) | instid1(VALU_DEP_1)
	v_cmp_ge_f32_e64 s40, 0, v55
	v_cndmask_b32_e64 v49, v64, v49, s40
	s_delay_alu instid0(VALU_DEP_4) | instskip(NEXT) | instid1(VALU_DEP_1)
	v_mul_f32_e32 v65, 0x37800000, v39
	v_cndmask_b32_e32 v39, v39, v65, vcc_lo
	v_cmp_class_f32_e64 vcc_lo, v36, 0x260
	s_delay_alu instid0(VALU_DEP_2) | instskip(NEXT) | instid1(VALU_DEP_1)
	v_cndmask_b32_e32 v36, v39, v36, vcc_lo
	v_cmp_nge_f32_e32 vcc_lo, 1.0, v36
	s_delay_alu instid0(VALU_DEP_3) | instskip(NEXT) | instid1(VALU_DEP_1)
	v_dual_fma_f32 v66, -v48, v64, v38 :: v_dual_cndmask_b32 v29, v54, v29, vcc_lo
	v_cmp_lt_f32_e64 s40, 0, v66
	v_cmp_class_f32_e64 vcc_lo, v38, 0x260
	s_delay_alu instid0(VALU_DEP_2) | instskip(NEXT) | instid1(VALU_DEP_1)
	v_cndmask_b32_e64 v48, v49, v48, s40
	v_mul_f32_e32 v39, 0x37800000, v48
	s_delay_alu instid0(VALU_DEP_1) | instskip(NEXT) | instid1(VALU_DEP_1)
	v_dual_cndmask_b32 v36, v48, v39, s29 :: v_dual_add_f32 v39, 1.0, v29
	v_cndmask_b32_e32 v36, v36, v38, vcc_lo
	s_delay_alu instid0(VALU_DEP_1) | instskip(NEXT) | instid1(VALU_DEP_3)
	v_cmp_nge_f32_e32 vcc_lo, 1.0, v36
	v_cndmask_b32_e32 v29, v39, v29, vcc_lo
	s_cbranch_scc1 .LBB27_1198
; %bb.1199:
	s_delay_alu instid0(VALU_DEP_1) | instskip(NEXT) | instid1(VALU_DEP_1)
	v_mul_f32_e32 v29, 4.0, v29
	v_div_scale_f32 v36, null, 0x459c4000, 0x459c4000, v29
	s_delay_alu instid0(VALU_DEP_1) | instskip(SKIP_1) | instid1(TRANS32_DEP_1)
	v_rcp_f32_e32 v37, v36
	v_nop
	v_fma_f32 v38, -v36, v37, 1.0
	s_delay_alu instid0(VALU_DEP_1) | instskip(SKIP_1) | instid1(VALU_DEP_1)
	v_fmac_f32_e32 v37, v38, v37
	v_div_scale_f32 v38, vcc_lo, v29, 0x459c4000, v29
	v_mul_f32_e32 v39, v38, v37
	s_delay_alu instid0(VALU_DEP_1) | instskip(NEXT) | instid1(VALU_DEP_1)
	v_fma_f32 v48, -v36, v39, v38
	v_fmac_f32_e32 v39, v48, v37
	s_delay_alu instid0(VALU_DEP_1) | instskip(NEXT) | instid1(VALU_DEP_1)
	v_fma_f32 v36, -v36, v39, v38
	v_div_fmas_f32 v36, v36, v37, v39
	s_delay_alu instid0(VALU_DEP_1)
	v_div_fixup_f32 v29, v36, 0x459c4000, v29
.LBB27_1200:
	s_or_b32 exec_lo, exec_lo, s60
	v_add_nc_u32_e32 v36, 0x1e00, v50
	s_delay_alu instid0(VALU_DEP_1)
	v_cmp_lt_u32_e64 s29, v36, v52
	s_and_saveexec_b32 s60, s29
	s_cbranch_execz .LBB27_1210
; %bb.1201:
	v_dual_mov_b32 v37, 1 :: v_dual_add_nc_u32 v30, v53, v36
	s_mov_b32 s41, 0
	s_mov_b32 s61, exec_lo
	s_delay_alu instid0(VALU_DEP_1) | instskip(NEXT) | instid1(VALU_DEP_1)
	v_mul_lo_u32 v36, 0x1388, v30
	v_cmpx_ne_u32_e32 0, v36
	s_cbranch_execz .LBB27_1207
; %bb.1202:
	v_mov_b32_e32 v37, 0
	v_mov_b64_e32 v[48:49], 1
	s_mov_b64 s[58:59], 0xbc8f
	s_mov_b64 s[42:43], 0xfffffffd
	;; [unrolled: 1-line block ×3, first 2 shown]
	v_mov_b64_e32 v[38:39], v[36:37]
	s_mov_b64 s[56:57], 0x80000001
	s_mov_b32 s72, 0
	s_branch .LBB27_1204
.LBB27_1203:                            ;   in Loop: Header=BB27_1204 Depth=1
	s_or_b32 exec_lo, exec_lo, s40
	s_mul_u64 s[58:59], s[58:59], s[58:59]
	s_mov_b32 s75, s41
	s_and_b64 s[76:77], s[58:59], s[42:43]
	s_mov_b32 s40, s59
	s_mul_u64 s[78:79], s[76:77], 3
	s_mul_u64 s[88:89], s[40:41], 3
	s_mov_b32 s74, s79
	s_mul_u64 s[76:77], s[76:77], s[56:57]
	s_add_nc_u64 s[74:75], s[88:89], s[74:75]
	v_lshrrev_b64 v[54:55], 1, v[38:39]
	s_and_b64 s[88:89], s[74:75], s[46:47]
	s_mov_b32 s79, s41
	s_add_nc_u64 s[76:77], s[76:77], s[88:89]
	s_mov_b32 s91, s41
	s_mov_b32 s78, s75
	;; [unrolled: 1-line block ×3, first 2 shown]
	s_mul_u64 s[76:77], s[40:41], s[56:57]
	s_add_nc_u64 s[74:75], s[78:79], s[90:91]
	v_cmp_gt_u64_e32 vcc_lo, 2, v[38:39]
	s_add_nc_u64 s[74:75], s[76:77], s[74:75]
	v_mov_b64_e32 v[38:39], v[54:55]
	s_lshr_b64 s[74:75], s[74:75], 30
	s_delay_alu instid0(SALU_CYCLE_1)
	s_mul_u64 s[74:75], s[74:75], 0x7fffffff
	s_or_b32 s72, vcc_lo, s72
	s_sub_nc_u64 s[58:59], s[58:59], s[74:75]
	s_and_not1_b32 exec_lo, exec_lo, s72
	s_cbranch_execz .LBB27_1206
.LBB27_1204:                            ; =>This Inner Loop Header: Depth=1
	s_delay_alu instid0(VALU_DEP_1) | instskip(SKIP_1) | instid1(VALU_DEP_1)
	v_and_b32_e32 v30, 1, v38
	s_mov_b32 s40, exec_lo
	v_cmpx_eq_u32_e32 1, v30
	s_cbranch_execz .LBB27_1203
; %bb.1205:                             ;   in Loop: Header=BB27_1204 Depth=1
	v_mul_u64_e32 v[48:49], s[58:59], v[48:49]
	s_delay_alu instid0(VALU_DEP_1) | instskip(NEXT) | instid1(VALU_DEP_1)
	v_mov_b32_e32 v36, v48
	v_mul_u64_e32 v[54:55], 5, v[36:37]
	s_delay_alu instid0(VALU_DEP_1) | instskip(NEXT) | instid1(VALU_DEP_1)
	v_mov_b32_e32 v36, v55
	v_mad_nc_u64_u32 v[54:55], v49, 5, v[36:37]
	s_delay_alu instid0(VALU_DEP_1) | instskip(NEXT) | instid1(VALU_DEP_1)
	v_dual_mov_b32 v36, v55 :: v_dual_mov_b32 v55, v37
	v_mad_nc_u64_u32 v[54:55], v48, 2, v[54:55]
	s_delay_alu instid0(VALU_DEP_1) | instskip(NEXT) | instid1(VALU_DEP_1)
	v_dual_mov_b32 v54, v55 :: v_dual_mov_b32 v55, v37
	v_add_nc_u64_e32 v[54:55], v[36:37], v[54:55]
	s_delay_alu instid0(VALU_DEP_1) | instskip(NEXT) | instid1(VALU_DEP_1)
	v_mad_nc_u64_u32 v[54:55], v49, 2, v[54:55]
	v_sub_nc_u64_e32 v[64:65], v[48:49], v[54:55]
	s_delay_alu instid0(VALU_DEP_1) | instskip(NEXT) | instid1(VALU_DEP_1)
	v_lshrrev_b64 v[64:65], 1, v[64:65]
	v_add_nc_u64_e32 v[54:55], v[64:65], v[54:55]
	s_delay_alu instid0(VALU_DEP_1) | instskip(NEXT) | instid1(VALU_DEP_1)
	v_lshrrev_b64 v[54:55], 30, v[54:55]
	v_mul_u64_e32 v[54:55], 0x7fffffff, v[54:55]
	s_delay_alu instid0(VALU_DEP_1)
	v_sub_nc_u64_e32 v[48:49], v[48:49], v[54:55]
	s_branch .LBB27_1203
.LBB27_1206:
	s_or_b32 exec_lo, exec_lo, s72
	v_add_min_u32_e64 v30, 0x80000001, v48, v48
	s_delay_alu instid0(VALU_DEP_1)
	v_add_min_u32_e64 v37, 0x80000001, v30, v30
.LBB27_1207:
	s_or_b32 exec_lo, exec_lo, s61
	v_mov_b32_e32 v30, 0
	s_movk_i32 s43, 0x1388
	s_brev_b32 s42, 12
.LBB27_1208:                            ; =>This Inner Loop Header: Depth=1
	v_mul_hi_u32 v36, 0xbc8f1391, v37
	s_delay_alu instid0(VALU_DEP_1) | instskip(NEXT) | instid1(VALU_DEP_1)
	v_dual_add_f32 v54, 1.0, v30 :: v_dual_lshrrev_b32 v36, 15, v36
	v_mul_u32_u24_e32 v38, 0xadc8, v36
	s_delay_alu instid0(VALU_DEP_1) | instskip(SKIP_1) | instid1(VALU_DEP_2)
	v_sub_nc_u32_e32 v37, v37, v38
	v_mul_u32_u24_e32 v36, 0xd47, v36
	v_mul_lo_u32 v37, 0xbc8f, v37
	s_delay_alu instid0(VALU_DEP_2) | instskip(SKIP_1) | instid1(VALU_DEP_3)
	v_xor_b32_e32 v38, 0x7fffffff, v36
	v_sub_nc_u32_e32 v39, 0, v36
	v_cmp_lt_u32_e32 vcc_lo, v37, v36
	s_delay_alu instid0(VALU_DEP_2) | instskip(NEXT) | instid1(VALU_DEP_1)
	v_cndmask_b32_e32 v36, v39, v38, vcc_lo
	v_add_nc_u32_e32 v36, v36, v37
	s_delay_alu instid0(VALU_DEP_1) | instskip(NEXT) | instid1(VALU_DEP_1)
	v_mul_hi_u32 v37, 0xbc8f1391, v36
	v_lshrrev_b32_e32 v37, 15, v37
	s_delay_alu instid0(VALU_DEP_1) | instskip(SKIP_1) | instid1(VALU_DEP_1)
	v_mul_u32_u24_e32 v38, 0xadc8, v37
	v_mul_u32_u24_e32 v37, 0xd47, v37
	v_dual_sub_nc_u32 v38, v36, v38 :: v_dual_sub_nc_u32 v48, 0, v37
	v_xor_b32_e32 v39, 0x7fffffff, v37
	v_add_nc_u32_e32 v36, -1, v36
	s_delay_alu instid0(VALU_DEP_3) | instskip(NEXT) | instid1(VALU_DEP_1)
	v_mul_lo_u32 v38, 0xbc8f, v38
	v_cmp_lt_u32_e32 vcc_lo, v38, v37
	s_delay_alu instid0(VALU_DEP_4) | instskip(NEXT) | instid1(VALU_DEP_1)
	v_cndmask_b32_e32 v37, v48, v39, vcc_lo
	v_add_nc_u32_e32 v37, v37, v38
	s_delay_alu instid0(VALU_DEP_1) | instskip(NEXT) | instid1(VALU_DEP_1)
	v_mul_hi_u32 v38, 0xbc8f1391, v37
	v_lshrrev_b32_e32 v38, 15, v38
	s_delay_alu instid0(VALU_DEP_1) | instskip(SKIP_1) | instid1(VALU_DEP_1)
	v_mul_u32_u24_e32 v39, 0xadc8, v38
	v_mul_u32_u24_e32 v38, 0xd47, v38
	v_dual_sub_nc_u32 v49, 0, v38 :: v_dual_sub_nc_u32 v39, v37, v39
	v_xor_b32_e32 v48, 0x7fffffff, v38
	v_add_nc_u32_e32 v37, -1, v37
	s_delay_alu instid0(VALU_DEP_3) | instskip(NEXT) | instid1(VALU_DEP_1)
	v_mul_lo_u32 v39, 0xbc8f, v39
	v_cmp_lt_u32_e32 vcc_lo, v39, v38
	s_delay_alu instid0(VALU_DEP_4) | instskip(NEXT) | instid1(VALU_DEP_1)
	v_cndmask_b32_e32 v38, v49, v48, vcc_lo
	v_add_nc_u32_e32 v48, v38, v39
	s_delay_alu instid0(VALU_DEP_1) | instskip(NEXT) | instid1(VALU_DEP_1)
	v_mul_hi_u32 v38, 0xbc8f1391, v48
	v_lshrrev_b32_e32 v38, 15, v38
	s_delay_alu instid0(VALU_DEP_1) | instskip(NEXT) | instid1(VALU_DEP_1)
	v_mul_u32_u24_e32 v39, 0xadc8, v38
	v_sub_nc_u32_e32 v39, v48, v39
	s_delay_alu instid0(VALU_DEP_1) | instskip(SKIP_2) | instid1(VALU_DEP_2)
	v_mul_lo_u32 v49, 0xbc8f, v39
	v_mul_u32_u24_e32 v39, 0xd47, v38
	v_cvt_f32_u32_e32 v38, v36
	v_xor_b32_e32 v36, 0x7fffffff, v39
	v_sub_nc_u32_e32 v55, 0, v39
	v_cmp_lt_u32_e32 vcc_lo, v49, v39
	v_cvt_f32_u32_e32 v39, v37
	s_delay_alu instid0(VALU_DEP_3) | instskip(NEXT) | instid1(VALU_DEP_2)
	v_cndmask_b32_e32 v36, v55, v36, vcc_lo
	v_pk_fma_f32 v[38:39], v[38:39], s[42:43], 0 op_sel_hi:[1,0,0]
	s_delay_alu instid0(VALU_DEP_2) | instskip(NEXT) | instid1(VALU_DEP_2)
	v_dual_add_nc_u32 v37, v36, v49 :: v_dual_add_nc_u32 v36, -1, v48
	v_pk_mul_f32 v[38:39], v[38:39], v[38:39]
	s_delay_alu instid0(VALU_DEP_2) | instskip(NEXT) | instid1(VALU_DEP_3)
	v_add_nc_u32_e32 v49, -1, v37
	v_cvt_f32_u32_e32 v48, v36
	s_delay_alu instid0(VALU_DEP_3) | instskip(NEXT) | instid1(VALU_DEP_3)
	v_add_f32_e32 v36, v38, v39
	v_cvt_f32_u32_e32 v49, v49
	s_delay_alu instid0(VALU_DEP_2) | instskip(NEXT) | instid1(VALU_DEP_2)
	v_cmp_gt_f32_e32 vcc_lo, 0xf800000, v36
	v_pk_fma_f32 v[38:39], v[48:49], s[42:43], 0 op_sel_hi:[1,0,0]
	v_mul_f32_e32 v48, 0x4f800000, v36
	s_add_co_i32 s43, s43, -2
	s_delay_alu instid0(SALU_CYCLE_1) | instskip(NEXT) | instid1(VALU_DEP_2)
	s_cmp_lg_u32 s43, 0
	v_pk_mul_f32 v[38:39], v[38:39], v[38:39]
	s_delay_alu instid0(VALU_DEP_1) | instskip(NEXT) | instid1(VALU_DEP_1)
	v_add_f32_e32 v38, v38, v39
	v_cmp_gt_f32_e64 s40, 0xf800000, v38
	v_cndmask_b32_e32 v36, v36, v48, vcc_lo
	v_mul_f32_e32 v48, 0x4f800000, v38
	s_delay_alu instid0(VALU_DEP_1) | instskip(NEXT) | instid1(VALU_DEP_3)
	v_cndmask_b32_e64 v38, v38, v48, s40
	v_sqrt_f32_e32 v39, v36
	s_delay_alu instid0(VALU_DEP_1) | instskip(NEXT) | instid1(TRANS32_DEP_2)
	v_sqrt_f32_e32 v64, v38
	v_dual_add_nc_u32 v49, -1, v39 :: v_dual_add_nc_u32 v48, 1, v39
	s_delay_alu instid0(VALU_DEP_1) | instskip(NEXT) | instid1(VALU_DEP_1)
	v_fma_f32 v55, -v49, v39, v36
	v_cmp_ge_f32_e64 s41, 0, v55
	s_delay_alu instid0(VALU_DEP_1) | instskip(NEXT) | instid1(VALU_DEP_1)
	v_dual_fma_f32 v65, -v48, v39, v36 :: v_dual_cndmask_b32 v39, v39, v49, s41
	v_cmp_lt_f32_e64 s41, 0, v65
	s_delay_alu instid0(TRANS32_DEP_1) | instskip(NEXT) | instid1(VALU_DEP_2)
	v_add_nc_u32_e32 v49, -1, v64
	v_cndmask_b32_e64 v39, v39, v48, s41
	s_delay_alu instid0(VALU_DEP_2) | instskip(NEXT) | instid1(VALU_DEP_1)
	v_dual_add_nc_u32 v48, 1, v64 :: v_dual_fma_f32 v55, -v49, v64, v38
	v_cmp_ge_f32_e64 s41, 0, v55
	s_delay_alu instid0(VALU_DEP_1) | instskip(NEXT) | instid1(VALU_DEP_4)
	v_cndmask_b32_e64 v49, v64, v49, s41
	v_mul_f32_e32 v65, 0x37800000, v39
	s_delay_alu instid0(VALU_DEP_1) | instskip(SKIP_1) | instid1(VALU_DEP_2)
	v_cndmask_b32_e32 v39, v39, v65, vcc_lo
	v_cmp_class_f32_e64 vcc_lo, v36, 0x260
	v_cndmask_b32_e32 v36, v39, v36, vcc_lo
	s_delay_alu instid0(VALU_DEP_1) | instskip(NEXT) | instid1(VALU_DEP_3)
	v_cmp_nge_f32_e32 vcc_lo, 1.0, v36
	v_dual_fma_f32 v66, -v48, v64, v38 :: v_dual_cndmask_b32 v30, v54, v30, vcc_lo
	s_delay_alu instid0(VALU_DEP_1) | instskip(SKIP_1) | instid1(VALU_DEP_2)
	v_cmp_lt_f32_e64 s41, 0, v66
	v_cmp_class_f32_e64 vcc_lo, v38, 0x260
	v_cndmask_b32_e64 v48, v49, v48, s41
	s_delay_alu instid0(VALU_DEP_1) | instskip(NEXT) | instid1(VALU_DEP_1)
	v_mul_f32_e32 v39, 0x37800000, v48
	v_dual_cndmask_b32 v36, v48, v39, s40 :: v_dual_add_f32 v39, 1.0, v30
	s_delay_alu instid0(VALU_DEP_1) | instskip(NEXT) | instid1(VALU_DEP_1)
	v_cndmask_b32_e32 v36, v36, v38, vcc_lo
	v_cmp_nge_f32_e32 vcc_lo, 1.0, v36
	s_delay_alu instid0(VALU_DEP_3)
	v_cndmask_b32_e32 v30, v39, v30, vcc_lo
	s_cbranch_scc1 .LBB27_1208
; %bb.1209:
	s_delay_alu instid0(VALU_DEP_1) | instskip(NEXT) | instid1(VALU_DEP_1)
	v_mul_f32_e32 v30, 4.0, v30
	v_div_scale_f32 v36, null, 0x459c4000, 0x459c4000, v30
	s_delay_alu instid0(VALU_DEP_1) | instskip(SKIP_1) | instid1(TRANS32_DEP_1)
	v_rcp_f32_e32 v37, v36
	v_nop
	v_fma_f32 v38, -v36, v37, 1.0
	s_delay_alu instid0(VALU_DEP_1) | instskip(SKIP_1) | instid1(VALU_DEP_1)
	v_fmac_f32_e32 v37, v38, v37
	v_div_scale_f32 v38, vcc_lo, v30, 0x459c4000, v30
	v_mul_f32_e32 v39, v38, v37
	s_delay_alu instid0(VALU_DEP_1) | instskip(NEXT) | instid1(VALU_DEP_1)
	v_fma_f32 v48, -v36, v39, v38
	v_fmac_f32_e32 v39, v48, v37
	s_delay_alu instid0(VALU_DEP_1) | instskip(NEXT) | instid1(VALU_DEP_1)
	v_fma_f32 v36, -v36, v39, v38
	v_div_fmas_f32 v36, v36, v37, v39
	s_delay_alu instid0(VALU_DEP_1)
	v_div_fixup_f32 v30, v36, 0x459c4000, v30
.LBB27_1210:
	s_or_b32 exec_lo, exec_lo, s60
	v_add_nc_u32_e32 v36, 0x1f00, v50
	s_delay_alu instid0(VALU_DEP_1)
	v_cmp_lt_u32_e64 s40, v36, v52
	s_and_saveexec_b32 s72, s40
	s_cbranch_execz .LBB27_1220
; %bb.1211:
	v_dual_add_nc_u32 v31, v53, v36 :: v_dual_mov_b32 v37, 1
	s_mov_b32 s43, 0
	s_mov_b32 s41, exec_lo
	s_delay_alu instid0(VALU_DEP_1) | instskip(NEXT) | instid1(VALU_DEP_1)
	v_mul_lo_u32 v36, 0x1388, v31
	v_cmpx_ne_u32_e32 0, v36
	s_cbranch_execz .LBB27_1217
; %bb.1212:
	v_mov_b32_e32 v37, 0
	v_mov_b64_e32 v[48:49], 1
	s_mov_b64 s[60:61], 0xbc8f
	s_mov_b64 s[46:47], 0xfffffffd
	;; [unrolled: 1-line block ×3, first 2 shown]
	v_mov_b64_e32 v[38:39], v[36:37]
	s_mov_b64 s[58:59], 0x80000001
	s_mov_b32 s73, 0
	s_branch .LBB27_1214
.LBB27_1213:                            ;   in Loop: Header=BB27_1214 Depth=1
	s_or_b32 exec_lo, exec_lo, s42
	s_mul_u64 s[60:61], s[60:61], s[60:61]
	s_mov_b32 s75, s43
	s_and_b64 s[76:77], s[60:61], s[46:47]
	s_mov_b32 s42, s61
	s_mul_u64 s[78:79], s[76:77], 3
	s_mul_u64 s[88:89], s[42:43], 3
	s_mov_b32 s74, s79
	s_mul_u64 s[76:77], s[76:77], s[58:59]
	s_add_nc_u64 s[74:75], s[88:89], s[74:75]
	v_lshrrev_b64 v[54:55], 1, v[38:39]
	s_and_b64 s[88:89], s[74:75], s[56:57]
	s_mov_b32 s79, s43
	s_add_nc_u64 s[76:77], s[76:77], s[88:89]
	s_mov_b32 s91, s43
	s_mov_b32 s78, s75
	;; [unrolled: 1-line block ×3, first 2 shown]
	s_mul_u64 s[76:77], s[42:43], s[58:59]
	s_add_nc_u64 s[74:75], s[78:79], s[90:91]
	v_cmp_gt_u64_e32 vcc_lo, 2, v[38:39]
	s_add_nc_u64 s[74:75], s[76:77], s[74:75]
	v_mov_b64_e32 v[38:39], v[54:55]
	s_lshr_b64 s[74:75], s[74:75], 30
	s_delay_alu instid0(SALU_CYCLE_1)
	s_mul_u64 s[74:75], s[74:75], 0x7fffffff
	s_or_b32 s73, vcc_lo, s73
	s_sub_nc_u64 s[60:61], s[60:61], s[74:75]
	s_and_not1_b32 exec_lo, exec_lo, s73
	s_cbranch_execz .LBB27_1216
.LBB27_1214:                            ; =>This Inner Loop Header: Depth=1
	s_delay_alu instid0(VALU_DEP_1) | instskip(SKIP_1) | instid1(VALU_DEP_1)
	v_and_b32_e32 v31, 1, v38
	s_mov_b32 s42, exec_lo
	v_cmpx_eq_u32_e32 1, v31
	s_cbranch_execz .LBB27_1213
; %bb.1215:                             ;   in Loop: Header=BB27_1214 Depth=1
	v_mul_u64_e32 v[48:49], s[60:61], v[48:49]
	s_delay_alu instid0(VALU_DEP_1) | instskip(NEXT) | instid1(VALU_DEP_1)
	v_mov_b32_e32 v36, v48
	v_mul_u64_e32 v[54:55], 5, v[36:37]
	s_delay_alu instid0(VALU_DEP_1) | instskip(NEXT) | instid1(VALU_DEP_1)
	v_mov_b32_e32 v36, v55
	v_mad_nc_u64_u32 v[54:55], v49, 5, v[36:37]
	s_delay_alu instid0(VALU_DEP_1) | instskip(NEXT) | instid1(VALU_DEP_1)
	v_dual_mov_b32 v36, v55 :: v_dual_mov_b32 v55, v37
	v_mad_nc_u64_u32 v[54:55], v48, 2, v[54:55]
	s_delay_alu instid0(VALU_DEP_1) | instskip(NEXT) | instid1(VALU_DEP_1)
	v_dual_mov_b32 v54, v55 :: v_dual_mov_b32 v55, v37
	v_add_nc_u64_e32 v[54:55], v[36:37], v[54:55]
	s_delay_alu instid0(VALU_DEP_1) | instskip(NEXT) | instid1(VALU_DEP_1)
	v_mad_nc_u64_u32 v[54:55], v49, 2, v[54:55]
	v_sub_nc_u64_e32 v[64:65], v[48:49], v[54:55]
	s_delay_alu instid0(VALU_DEP_1) | instskip(NEXT) | instid1(VALU_DEP_1)
	v_lshrrev_b64 v[64:65], 1, v[64:65]
	v_add_nc_u64_e32 v[54:55], v[64:65], v[54:55]
	s_delay_alu instid0(VALU_DEP_1) | instskip(NEXT) | instid1(VALU_DEP_1)
	v_lshrrev_b64 v[54:55], 30, v[54:55]
	v_mul_u64_e32 v[54:55], 0x7fffffff, v[54:55]
	s_delay_alu instid0(VALU_DEP_1)
	v_sub_nc_u64_e32 v[48:49], v[48:49], v[54:55]
	s_branch .LBB27_1213
.LBB27_1216:
	s_or_b32 exec_lo, exec_lo, s73
	v_add_min_u32_e64 v31, 0x80000001, v48, v48
	s_delay_alu instid0(VALU_DEP_1)
	v_add_min_u32_e64 v37, 0x80000001, v31, v31
.LBB27_1217:
	s_or_b32 exec_lo, exec_lo, s41
	v_mov_b32_e32 v31, 0
	s_movk_i32 s43, 0x1388
	s_brev_b32 s46, 12
.LBB27_1218:                            ; =>This Inner Loop Header: Depth=1
	v_mul_hi_u32 v36, 0xbc8f1391, v37
	s_add_co_i32 s43, s43, -2
	s_delay_alu instid0(VALU_DEP_2) | instskip(SKIP_1) | instid1(VALU_DEP_2)
	v_add_f32_e32 v53, 1.0, v31
	s_cmp_lg_u32 s43, 0
	v_lshrrev_b32_e32 v36, 15, v36
	s_delay_alu instid0(VALU_DEP_1) | instskip(NEXT) | instid1(VALU_DEP_1)
	v_mul_u32_u24_e32 v38, 0xadc8, v36
	v_sub_nc_u32_e32 v37, v37, v38
	v_mul_u32_u24_e32 v36, 0xd47, v36
	s_delay_alu instid0(VALU_DEP_2) | instskip(NEXT) | instid1(VALU_DEP_2)
	v_mul_lo_u32 v37, 0xbc8f, v37
	v_xor_b32_e32 v38, 0x7fffffff, v36
	v_sub_nc_u32_e32 v39, 0, v36
	s_delay_alu instid0(VALU_DEP_3) | instskip(NEXT) | instid1(VALU_DEP_2)
	v_cmp_lt_u32_e32 vcc_lo, v37, v36
	v_cndmask_b32_e32 v36, v39, v38, vcc_lo
	s_delay_alu instid0(VALU_DEP_1) | instskip(NEXT) | instid1(VALU_DEP_1)
	v_add_nc_u32_e32 v36, v36, v37
	v_mul_hi_u32 v37, 0xbc8f1391, v36
	s_delay_alu instid0(VALU_DEP_1) | instskip(NEXT) | instid1(VALU_DEP_1)
	v_lshrrev_b32_e32 v37, 15, v37
	v_mul_u32_u24_e32 v38, 0xadc8, v37
	v_mul_u32_u24_e32 v37, 0xd47, v37
	s_delay_alu instid0(VALU_DEP_1) | instskip(SKIP_2) | instid1(VALU_DEP_3)
	v_dual_sub_nc_u32 v38, v36, v38 :: v_dual_sub_nc_u32 v48, 0, v37
	v_xor_b32_e32 v39, 0x7fffffff, v37
	v_add_nc_u32_e32 v36, -1, v36
	v_mul_lo_u32 v38, 0xbc8f, v38
	s_delay_alu instid0(VALU_DEP_1) | instskip(NEXT) | instid1(VALU_DEP_4)
	v_cmp_lt_u32_e32 vcc_lo, v38, v37
	v_cndmask_b32_e32 v37, v48, v39, vcc_lo
	s_delay_alu instid0(VALU_DEP_1) | instskip(NEXT) | instid1(VALU_DEP_1)
	v_add_nc_u32_e32 v37, v37, v38
	v_mul_hi_u32 v38, 0xbc8f1391, v37
	s_delay_alu instid0(VALU_DEP_1) | instskip(NEXT) | instid1(VALU_DEP_1)
	v_lshrrev_b32_e32 v38, 15, v38
	v_mul_u32_u24_e32 v39, 0xadc8, v38
	v_mul_u32_u24_e32 v38, 0xd47, v38
	s_delay_alu instid0(VALU_DEP_1) | instskip(SKIP_2) | instid1(VALU_DEP_3)
	v_dual_sub_nc_u32 v49, 0, v38 :: v_dual_sub_nc_u32 v39, v37, v39
	v_xor_b32_e32 v48, 0x7fffffff, v38
	v_add_nc_u32_e32 v37, -1, v37
	v_mul_lo_u32 v39, 0xbc8f, v39
	s_delay_alu instid0(VALU_DEP_1) | instskip(NEXT) | instid1(VALU_DEP_4)
	v_cmp_lt_u32_e32 vcc_lo, v39, v38
	v_cndmask_b32_e32 v38, v49, v48, vcc_lo
	s_delay_alu instid0(VALU_DEP_1) | instskip(NEXT) | instid1(VALU_DEP_1)
	v_add_nc_u32_e32 v48, v38, v39
	v_mul_hi_u32 v38, 0xbc8f1391, v48
	s_delay_alu instid0(VALU_DEP_1) | instskip(NEXT) | instid1(VALU_DEP_1)
	v_lshrrev_b32_e32 v38, 15, v38
	v_mul_u32_u24_e32 v39, 0xadc8, v38
	s_delay_alu instid0(VALU_DEP_1) | instskip(NEXT) | instid1(VALU_DEP_1)
	v_sub_nc_u32_e32 v39, v48, v39
	v_mul_lo_u32 v49, 0xbc8f, v39
	v_mul_u32_u24_e32 v39, 0xd47, v38
	v_cvt_f32_u32_e32 v38, v36
	s_delay_alu instid0(VALU_DEP_2) | instskip(SKIP_3) | instid1(VALU_DEP_3)
	v_xor_b32_e32 v36, 0x7fffffff, v39
	v_sub_nc_u32_e32 v54, 0, v39
	v_cmp_lt_u32_e32 vcc_lo, v49, v39
	v_cvt_f32_u32_e32 v39, v37
	v_cndmask_b32_e32 v36, v54, v36, vcc_lo
	s_delay_alu instid0(VALU_DEP_2) | instskip(NEXT) | instid1(VALU_DEP_2)
	v_pk_fma_f32 v[38:39], v[38:39], s[46:47], 0 op_sel_hi:[1,0,0]
	v_dual_add_nc_u32 v37, v36, v49 :: v_dual_add_nc_u32 v36, -1, v48
	s_delay_alu instid0(VALU_DEP_2) | instskip(NEXT) | instid1(VALU_DEP_2)
	v_pk_mul_f32 v[38:39], v[38:39], v[38:39]
	v_add_nc_u32_e32 v49, -1, v37
	s_delay_alu instid0(VALU_DEP_3) | instskip(NEXT) | instid1(VALU_DEP_3)
	v_cvt_f32_u32_e32 v48, v36
	v_add_f32_e32 v36, v38, v39
	s_delay_alu instid0(VALU_DEP_3) | instskip(NEXT) | instid1(VALU_DEP_2)
	v_cvt_f32_u32_e32 v49, v49
	v_cmp_gt_f32_e32 vcc_lo, 0xf800000, v36
	s_delay_alu instid0(VALU_DEP_2) | instskip(SKIP_1) | instid1(VALU_DEP_2)
	v_pk_fma_f32 v[38:39], v[48:49], s[46:47], 0 op_sel_hi:[1,0,0]
	v_mul_f32_e32 v48, 0x4f800000, v36
	v_pk_mul_f32 v[38:39], v[38:39], v[38:39]
	s_delay_alu instid0(VALU_DEP_1) | instskip(NEXT) | instid1(VALU_DEP_1)
	v_add_f32_e32 v38, v38, v39
	v_cmp_gt_f32_e64 s41, 0xf800000, v38
	s_delay_alu instid0(VALU_DEP_4) | instskip(SKIP_1) | instid1(VALU_DEP_1)
	v_cndmask_b32_e32 v36, v36, v48, vcc_lo
	v_mul_f32_e32 v48, 0x4f800000, v38
	v_cndmask_b32_e64 v38, v38, v48, s41
	s_delay_alu instid0(VALU_DEP_3) | instskip(NEXT) | instid1(VALU_DEP_1)
	v_sqrt_f32_e32 v39, v36
	v_sqrt_f32_e32 v55, v38
	s_delay_alu instid0(TRANS32_DEP_2) | instskip(NEXT) | instid1(VALU_DEP_1)
	v_dual_add_nc_u32 v49, -1, v39 :: v_dual_add_nc_u32 v48, 1, v39
	v_fma_f32 v54, -v49, v39, v36
	s_delay_alu instid0(VALU_DEP_1) | instskip(NEXT) | instid1(VALU_DEP_1)
	v_cmp_ge_f32_e64 s42, 0, v54
	v_dual_fma_f32 v64, -v48, v39, v36 :: v_dual_cndmask_b32 v39, v39, v49, s42
	s_delay_alu instid0(VALU_DEP_1)
	v_cmp_lt_f32_e64 s42, 0, v64
	s_delay_alu instid0(TRANS32_DEP_1) | instid1(VALU_DEP_1)
	v_dual_add_nc_u32 v49, -1, v55 :: v_dual_cndmask_b32 v39, v39, v48, s42
	s_delay_alu instid0(VALU_DEP_1) | instskip(NEXT) | instid1(VALU_DEP_1)
	v_dual_add_nc_u32 v48, 1, v55 :: v_dual_fma_f32 v54, -v49, v55, v38
	v_fma_f32 v65, -v48, v55, v38
	s_delay_alu instid0(VALU_DEP_2) | instskip(NEXT) | instid1(VALU_DEP_1)
	v_cmp_ge_f32_e64 s42, 0, v54
	v_cndmask_b32_e64 v49, v55, v49, s42
	s_delay_alu instid0(VALU_DEP_3) | instskip(NEXT) | instid1(VALU_DEP_1)
	v_cmp_lt_f32_e64 s42, 0, v65
	v_cndmask_b32_e64 v48, v49, v48, s42
	v_mul_f32_e32 v64, 0x37800000, v39
	s_delay_alu instid0(VALU_DEP_1) | instskip(SKIP_1) | instid1(VALU_DEP_2)
	v_cndmask_b32_e32 v39, v39, v64, vcc_lo
	v_cmp_class_f32_e64 vcc_lo, v36, 0x260
	v_cndmask_b32_e32 v36, v39, v36, vcc_lo
	v_mul_f32_e32 v39, 0x37800000, v48
	s_delay_alu instid0(VALU_DEP_2) | instskip(NEXT) | instid1(VALU_DEP_2)
	v_cmp_nge_f32_e32 vcc_lo, 1.0, v36
	v_cndmask_b32_e64 v36, v48, v39, s41
	v_cndmask_b32_e32 v31, v53, v31, vcc_lo
	v_cmp_class_f32_e64 vcc_lo, v38, 0x260
	s_delay_alu instid0(VALU_DEP_2) | instskip(NEXT) | instid1(VALU_DEP_1)
	v_dual_add_f32 v39, 1.0, v31 :: v_dual_cndmask_b32 v36, v36, v38
	v_cmp_nge_f32_e32 vcc_lo, 1.0, v36
	s_delay_alu instid0(VALU_DEP_2)
	v_cndmask_b32_e32 v31, v39, v31, vcc_lo
	s_cbranch_scc1 .LBB27_1218
; %bb.1219:
	s_delay_alu instid0(VALU_DEP_1) | instskip(NEXT) | instid1(VALU_DEP_1)
	v_mul_f32_e32 v31, 4.0, v31
	v_div_scale_f32 v36, null, 0x459c4000, 0x459c4000, v31
	s_delay_alu instid0(VALU_DEP_1) | instskip(SKIP_1) | instid1(TRANS32_DEP_1)
	v_rcp_f32_e32 v37, v36
	v_nop
	v_fma_f32 v38, -v36, v37, 1.0
	s_delay_alu instid0(VALU_DEP_1) | instskip(SKIP_1) | instid1(VALU_DEP_1)
	v_fmac_f32_e32 v37, v38, v37
	v_div_scale_f32 v38, vcc_lo, v31, 0x459c4000, v31
	v_mul_f32_e32 v39, v38, v37
	s_delay_alu instid0(VALU_DEP_1) | instskip(NEXT) | instid1(VALU_DEP_1)
	v_fma_f32 v48, -v36, v39, v38
	v_fmac_f32_e32 v39, v48, v37
	s_delay_alu instid0(VALU_DEP_1) | instskip(NEXT) | instid1(VALU_DEP_1)
	v_fma_f32 v36, -v36, v39, v38
	v_div_fmas_f32 v36, v36, v37, v39
	s_delay_alu instid0(VALU_DEP_1)
	v_div_fixup_f32 v31, v36, 0x459c4000, v31
.LBB27_1220:
	s_or_b32 exec_lo, exec_lo, s72
	v_add_f32_e32 v1, v0, v1
	s_delay_alu instid0(VALU_DEP_1) | instskip(NEXT) | instid1(VALU_DEP_1)
	v_cndmask_b32_e64 v0, v0, v1, s0
	v_add_f32_e32 v1, v2, v0
	s_delay_alu instid0(VALU_DEP_1) | instskip(NEXT) | instid1(VALU_DEP_1)
	v_cndmask_b32_e64 v0, v0, v1, s1
	;; [unrolled: 3-line block ×3, first 2 shown]
	v_add_f32_e32 v1, v4, v0
	v_and_b32_e32 v4, 0x3e0, v50
	s_delay_alu instid0(VALU_DEP_2) | instskip(NEXT) | instid1(VALU_DEP_1)
	v_cndmask_b32_e64 v0, v0, v1, s3
	v_add_f32_e32 v1, v5, v0
	s_delay_alu instid0(VALU_DEP_1) | instskip(NEXT) | instid1(VALU_DEP_1)
	v_cndmask_b32_e64 v0, v0, v1, s4
	v_add_f32_e32 v1, v6, v0
	s_delay_alu instid0(VALU_DEP_1) | instskip(NEXT) | instid1(VALU_DEP_1)
	;; [unrolled: 3-line block ×24, first 2 shown]
	v_cndmask_b32_e64 v0, v0, v1, s27
	v_add_f32_e32 v1, v29, v0
	s_delay_alu instid0(VALU_DEP_1) | instskip(SKIP_1) | instid1(VALU_DEP_2)
	v_cndmask_b32_e64 v1, v0, v1, s28
	v_mbcnt_lo_u32_b32 v0, -1, 0
	v_add_f32_e32 v2, v30, v1
	s_delay_alu instid0(VALU_DEP_2) | instskip(SKIP_2) | instid1(VALU_DEP_4)
	v_cmp_ne_u32_e32 vcc_lo, 31, v0
	v_add_nc_u32_e32 v6, 1, v0
	v_cmp_gt_u32_e64 s0, 28, v0
	v_dual_add_nc_u32 v7, 2, v0 :: v_dual_cndmask_b32 v1, v1, v2, s29
	v_add_co_ci_u32_e64 v2, null, 0, v0, vcc_lo
	v_cmp_gt_u32_e32 vcc_lo, 30, v0
	s_delay_alu instid0(VALU_DEP_2) | instskip(SKIP_1) | instid1(VALU_DEP_2)
	v_dual_add_f32 v3, v31, v1 :: v_dual_lshlrev_b32 v2, 2, v2
	v_cndmask_b32_e64 v5, 0, 2, vcc_lo
	v_cndmask_b32_e64 v1, v1, v3, s40
	s_delay_alu instid0(VALU_DEP_2) | instskip(SKIP_2) | instid1(VALU_DEP_1)
	v_add_lshl_u32 v5, v5, v0, 2
	ds_bpermute_b32 v3, v2, v1
	v_min_u32_e32 v2, 0x100, v52
	v_sub_nc_u32_e64 v4, v2, v4 clamp
	s_delay_alu instid0(VALU_DEP_1) | instskip(SKIP_3) | instid1(VALU_DEP_3)
	v_cmp_lt_u32_e32 vcc_lo, v6, v4
	v_cndmask_b32_e64 v6, 0, 4, s0
	v_cmp_lt_u32_e64 s0, v7, v4
	v_add_nc_u32_e32 v7, 4, v0
	v_add_lshl_u32 v6, v6, v0, 2
	s_wait_dscnt 0x0
	v_add_f32_e32 v3, v1, v3
	s_delay_alu instid0(VALU_DEP_1) | instskip(SKIP_3) | instid1(VALU_DEP_1)
	v_cndmask_b32_e32 v3, v1, v3, vcc_lo
	ds_bpermute_b32 v5, v5, v3
	s_wait_dscnt 0x0
	v_add_f32_e32 v5, v3, v5
	v_cndmask_b32_e64 v3, v3, v5, s0
	v_cmp_gt_u32_e64 s0, 24, v0
	ds_bpermute_b32 v5, v6, v3
	v_cndmask_b32_e64 v6, 0, 8, s0
	v_cmp_lt_u32_e64 s0, v7, v4
	v_add_nc_u32_e32 v7, 8, v0
	s_delay_alu instid0(VALU_DEP_3) | instskip(SKIP_2) | instid1(VALU_DEP_1)
	v_add_lshl_u32 v6, v6, v0, 2
	s_wait_dscnt 0x0
	v_add_f32_e32 v5, v3, v5
	v_dual_cndmask_b32 v5, v3, v5, s0 :: v_dual_lshlrev_b32 v3, 2, v0
	v_cmp_lt_u32_e64 s0, v7, v4
	v_add_nc_u32_e32 v7, 16, v0
	ds_bpermute_b32 v6, v6, v5
	s_wait_dscnt 0x0
	v_dual_add_f32 v6, v5, v6 :: v_dual_bitop2_b32 v8, 64, v3 bitop3:0x54
	s_delay_alu instid0(VALU_DEP_1) | instskip(SKIP_4) | instid1(VALU_DEP_1)
	v_cndmask_b32_e64 v5, v5, v6, s0
	v_cmp_lt_u32_e64 s0, v7, v4
	ds_bpermute_b32 v6, v8, v5
	s_wait_dscnt 0x0
	v_add_f32_e32 v6, v5, v6
	v_cndmask_b32_e64 v4, v5, v6, s0
	s_mov_b32 s0, exec_lo
	s_delay_alu instid0(VALU_DEP_1)
	v_cndmask_b32_e32 v1, v1, v4, vcc_lo
	v_cmpx_eq_u32_e32 0, v0
; %bb.1221:
	v_lshrrev_b32_e32 v4, 3, v50
	s_delay_alu instid0(VALU_DEP_1)
	v_and_b32_e32 v4, 0x7c, v4
	ds_store_b32 v4, v1 offset:192
; %bb.1222:
	s_or_b32 exec_lo, exec_lo, s0
	s_delay_alu instid0(SALU_CYCLE_1)
	s_mov_b32 s1, exec_lo
	s_wait_storecnt 0x0
	s_wait_loadcnt_dscnt 0x0
	s_barrier_signal -1
	s_barrier_wait -1
	v_cmpx_gt_u32_e32 8, v50
	s_cbranch_execz .LBB27_1224
; %bb.1223:
	ds_load_b32 v1, v3 offset:192
	v_and_b32_e32 v4, 7, v0
	v_or_b32_e32 v3, 16, v3
	s_delay_alu instid0(VALU_DEP_2) | instskip(SKIP_1) | instid1(VALU_DEP_1)
	v_cmp_ne_u32_e32 vcc_lo, 7, v4
	v_add_co_ci_u32_e64 v5, null, 0, v0, vcc_lo
	v_dual_lshlrev_b32 v5, 2, v5 :: v_dual_add_nc_u32 v2, 31, v2
	v_add_nc_u32_e32 v7, 1, v4
	v_cmp_gt_u32_e32 vcc_lo, 6, v4
	s_wait_dscnt 0x0
	ds_bpermute_b32 v5, v5, v1
	v_lshrrev_b32_e32 v2, 5, v2
	v_cndmask_b32_e64 v6, 0, 2, vcc_lo
	s_delay_alu instid0(VALU_DEP_1) | instskip(SKIP_3) | instid1(VALU_DEP_2)
	v_add_lshl_u32 v0, v6, v0, 2
	s_wait_dscnt 0x0
	v_dual_add_f32 v5, v1, v5 :: v_dual_add_nc_u32 v6, 2, v4
	v_cmp_lt_u32_e32 vcc_lo, v7, v2
	v_cmp_lt_u32_e64 s0, v6, v2
	s_delay_alu instid0(VALU_DEP_3) | instskip(SKIP_3) | instid1(VALU_DEP_1)
	v_cndmask_b32_e32 v5, v1, v5, vcc_lo
	ds_bpermute_b32 v0, v0, v5
	s_wait_dscnt 0x0
	v_add_f32_e32 v0, v5, v0
	v_cndmask_b32_e64 v0, v5, v0, s0
	ds_bpermute_b32 v3, v3, v0
	s_wait_dscnt 0x0
	v_dual_add_f32 v3, v0, v3 :: v_dual_add_nc_u32 v4, 4, v4
	s_delay_alu instid0(VALU_DEP_1) | instskip(NEXT) | instid1(VALU_DEP_1)
	v_cmp_lt_u32_e64 s0, v4, v2
	v_cndmask_b32_e64 v0, v0, v3, s0
	s_delay_alu instid0(VALU_DEP_1)
	v_cndmask_b32_e32 v1, v1, v0, vcc_lo
.LBB27_1224:
	s_or_b32 exec_lo, exec_lo, s1
	s_delay_alu instid0(SALU_CYCLE_1)
	s_or_b32 exec_lo, exec_lo, s63
	v_cmp_eq_u32_e32 vcc_lo, 0, v50
	s_and_b32 exec_lo, exec_lo, vcc_lo
	s_cbranch_execz .LBB27_1227
; %bb.1231:
	s_add_pc_i64 .LBB27_29-.Lpost_addpc3
.Lpost_addpc3:
.LBB27_1227:
	s_add_pc_i64 .LBB27_30-.Lpost_addpc1
.Lpost_addpc1:
.Lfunc_end27:
	.size	_ZN7rocprim17ROCPRIM_400000_NS6detail18constexpr_for_implIZZNS1_11reduce_implILb1ENS0_14default_configEN6thrust23THRUST_200600_302600_NS11hip_rocprim26transform_input_iterator_tIfNS6_17counting_iteratorIiNS6_11use_defaultESA_SA_EE11estimate_piEEPffNS6_4plusIfEEEE10hipError_tPvRmT1_T2_T3_mT4_P12ihipStream_tbENUlT_E1_clINS1_13target_configIS4_NS1_22reduce_config_selectorIfEENS1_11comp_targetILNS1_3genE0ELNS1_11target_archE4294967295ELNS1_3gpuE0ELNS1_3repE0EEELNS0_4arch9wavefront6targetE0EEEEEDaSQ_EUlSQ_E_TnDaLi0ETnDaLi1EJLm0ELm1ELm2ELm3ELm4ELm5EEEEvOSQ_St16integer_sequenceImJXspT2_EEE, .Lfunc_end27-_ZN7rocprim17ROCPRIM_400000_NS6detail18constexpr_for_implIZZNS1_11reduce_implILb1ENS0_14default_configEN6thrust23THRUST_200600_302600_NS11hip_rocprim26transform_input_iterator_tIfNS6_17counting_iteratorIiNS6_11use_defaultESA_SA_EE11estimate_piEEPffNS6_4plusIfEEEE10hipError_tPvRmT1_T2_T3_mT4_P12ihipStream_tbENUlT_E1_clINS1_13target_configIS4_NS1_22reduce_config_selectorIfEENS1_11comp_targetILNS1_3genE0ELNS1_11target_archE4294967295ELNS1_3gpuE0ELNS1_3repE0EEELNS0_4arch9wavefront6targetE0EEEEEDaSQ_EUlSQ_E_TnDaLi0ETnDaLi1EJLm0ELm1ELm2ELm3ELm4ELm5EEEEvOSQ_St16integer_sequenceImJXspT2_EEE
                                        ; -- End function
	.set .L_ZN7rocprim17ROCPRIM_400000_NS6detail18constexpr_for_implIZZNS1_11reduce_implILb1ENS0_14default_configEN6thrust23THRUST_200600_302600_NS11hip_rocprim26transform_input_iterator_tIfNS6_17counting_iteratorIiNS6_11use_defaultESA_SA_EE11estimate_piEEPffNS6_4plusIfEEEE10hipError_tPvRmT1_T2_T3_mT4_P12ihipStream_tbENUlT_E1_clINS1_13target_configIS4_NS1_22reduce_config_selectorIfEENS1_11comp_targetILNS1_3genE0ELNS1_11target_archE4294967295ELNS1_3gpuE0ELNS1_3repE0EEELNS0_4arch9wavefront6targetE0EEEEEDaSQ_EUlSQ_E_TnDaLi0ETnDaLi1EJLm0ELm1ELm2ELm3ELm4ELm5EEEEvOSQ_St16integer_sequenceImJXspT2_EEE.num_vgpr, 71
	.set .L_ZN7rocprim17ROCPRIM_400000_NS6detail18constexpr_for_implIZZNS1_11reduce_implILb1ENS0_14default_configEN6thrust23THRUST_200600_302600_NS11hip_rocprim26transform_input_iterator_tIfNS6_17counting_iteratorIiNS6_11use_defaultESA_SA_EE11estimate_piEEPffNS6_4plusIfEEEE10hipError_tPvRmT1_T2_T3_mT4_P12ihipStream_tbENUlT_E1_clINS1_13target_configIS4_NS1_22reduce_config_selectorIfEENS1_11comp_targetILNS1_3genE0ELNS1_11target_archE4294967295ELNS1_3gpuE0ELNS1_3repE0EEELNS0_4arch9wavefront6targetE0EEEEEDaSQ_EUlSQ_E_TnDaLi0ETnDaLi1EJLm0ELm1ELm2ELm3ELm4ELm5EEEEvOSQ_St16integer_sequenceImJXspT2_EEE.num_agpr, 0
	.set .L_ZN7rocprim17ROCPRIM_400000_NS6detail18constexpr_for_implIZZNS1_11reduce_implILb1ENS0_14default_configEN6thrust23THRUST_200600_302600_NS11hip_rocprim26transform_input_iterator_tIfNS6_17counting_iteratorIiNS6_11use_defaultESA_SA_EE11estimate_piEEPffNS6_4plusIfEEEE10hipError_tPvRmT1_T2_T3_mT4_P12ihipStream_tbENUlT_E1_clINS1_13target_configIS4_NS1_22reduce_config_selectorIfEENS1_11comp_targetILNS1_3genE0ELNS1_11target_archE4294967295ELNS1_3gpuE0ELNS1_3repE0EEELNS0_4arch9wavefront6targetE0EEEEEDaSQ_EUlSQ_E_TnDaLi0ETnDaLi1EJLm0ELm1ELm2ELm3ELm4ELm5EEEEvOSQ_St16integer_sequenceImJXspT2_EEE.numbered_sgpr, 92
	.set .L_ZN7rocprim17ROCPRIM_400000_NS6detail18constexpr_for_implIZZNS1_11reduce_implILb1ENS0_14default_configEN6thrust23THRUST_200600_302600_NS11hip_rocprim26transform_input_iterator_tIfNS6_17counting_iteratorIiNS6_11use_defaultESA_SA_EE11estimate_piEEPffNS6_4plusIfEEEE10hipError_tPvRmT1_T2_T3_mT4_P12ihipStream_tbENUlT_E1_clINS1_13target_configIS4_NS1_22reduce_config_selectorIfEENS1_11comp_targetILNS1_3genE0ELNS1_11target_archE4294967295ELNS1_3gpuE0ELNS1_3repE0EEELNS0_4arch9wavefront6targetE0EEEEEDaSQ_EUlSQ_E_TnDaLi0ETnDaLi1EJLm0ELm1ELm2ELm3ELm4ELm5EEEEvOSQ_St16integer_sequenceImJXspT2_EEE.num_named_barrier, 0
	.set .L_ZN7rocprim17ROCPRIM_400000_NS6detail18constexpr_for_implIZZNS1_11reduce_implILb1ENS0_14default_configEN6thrust23THRUST_200600_302600_NS11hip_rocprim26transform_input_iterator_tIfNS6_17counting_iteratorIiNS6_11use_defaultESA_SA_EE11estimate_piEEPffNS6_4plusIfEEEE10hipError_tPvRmT1_T2_T3_mT4_P12ihipStream_tbENUlT_E1_clINS1_13target_configIS4_NS1_22reduce_config_selectorIfEENS1_11comp_targetILNS1_3genE0ELNS1_11target_archE4294967295ELNS1_3gpuE0ELNS1_3repE0EEELNS0_4arch9wavefront6targetE0EEEEEDaSQ_EUlSQ_E_TnDaLi0ETnDaLi1EJLm0ELm1ELm2ELm3ELm4ELm5EEEEvOSQ_St16integer_sequenceImJXspT2_EEE.private_seg_size, 0
	.set .L_ZN7rocprim17ROCPRIM_400000_NS6detail18constexpr_for_implIZZNS1_11reduce_implILb1ENS0_14default_configEN6thrust23THRUST_200600_302600_NS11hip_rocprim26transform_input_iterator_tIfNS6_17counting_iteratorIiNS6_11use_defaultESA_SA_EE11estimate_piEEPffNS6_4plusIfEEEE10hipError_tPvRmT1_T2_T3_mT4_P12ihipStream_tbENUlT_E1_clINS1_13target_configIS4_NS1_22reduce_config_selectorIfEENS1_11comp_targetILNS1_3genE0ELNS1_11target_archE4294967295ELNS1_3gpuE0ELNS1_3repE0EEELNS0_4arch9wavefront6targetE0EEEEEDaSQ_EUlSQ_E_TnDaLi0ETnDaLi1EJLm0ELm1ELm2ELm3ELm4ELm5EEEEvOSQ_St16integer_sequenceImJXspT2_EEE.uses_vcc, 1
	.set .L_ZN7rocprim17ROCPRIM_400000_NS6detail18constexpr_for_implIZZNS1_11reduce_implILb1ENS0_14default_configEN6thrust23THRUST_200600_302600_NS11hip_rocprim26transform_input_iterator_tIfNS6_17counting_iteratorIiNS6_11use_defaultESA_SA_EE11estimate_piEEPffNS6_4plusIfEEEE10hipError_tPvRmT1_T2_T3_mT4_P12ihipStream_tbENUlT_E1_clINS1_13target_configIS4_NS1_22reduce_config_selectorIfEENS1_11comp_targetILNS1_3genE0ELNS1_11target_archE4294967295ELNS1_3gpuE0ELNS1_3repE0EEELNS0_4arch9wavefront6targetE0EEEEEDaSQ_EUlSQ_E_TnDaLi0ETnDaLi1EJLm0ELm1ELm2ELm3ELm4ELm5EEEEvOSQ_St16integer_sequenceImJXspT2_EEE.uses_flat_scratch, 1
	.set .L_ZN7rocprim17ROCPRIM_400000_NS6detail18constexpr_for_implIZZNS1_11reduce_implILb1ENS0_14default_configEN6thrust23THRUST_200600_302600_NS11hip_rocprim26transform_input_iterator_tIfNS6_17counting_iteratorIiNS6_11use_defaultESA_SA_EE11estimate_piEEPffNS6_4plusIfEEEE10hipError_tPvRmT1_T2_T3_mT4_P12ihipStream_tbENUlT_E1_clINS1_13target_configIS4_NS1_22reduce_config_selectorIfEENS1_11comp_targetILNS1_3genE0ELNS1_11target_archE4294967295ELNS1_3gpuE0ELNS1_3repE0EEELNS0_4arch9wavefront6targetE0EEEEEDaSQ_EUlSQ_E_TnDaLi0ETnDaLi1EJLm0ELm1ELm2ELm3ELm4ELm5EEEEvOSQ_St16integer_sequenceImJXspT2_EEE.has_dyn_sized_stack, 0
	.set .L_ZN7rocprim17ROCPRIM_400000_NS6detail18constexpr_for_implIZZNS1_11reduce_implILb1ENS0_14default_configEN6thrust23THRUST_200600_302600_NS11hip_rocprim26transform_input_iterator_tIfNS6_17counting_iteratorIiNS6_11use_defaultESA_SA_EE11estimate_piEEPffNS6_4plusIfEEEE10hipError_tPvRmT1_T2_T3_mT4_P12ihipStream_tbENUlT_E1_clINS1_13target_configIS4_NS1_22reduce_config_selectorIfEENS1_11comp_targetILNS1_3genE0ELNS1_11target_archE4294967295ELNS1_3gpuE0ELNS1_3repE0EEELNS0_4arch9wavefront6targetE0EEEEEDaSQ_EUlSQ_E_TnDaLi0ETnDaLi1EJLm0ELm1ELm2ELm3ELm4ELm5EEEEvOSQ_St16integer_sequenceImJXspT2_EEE.has_recursion, 0
	.set .L_ZN7rocprim17ROCPRIM_400000_NS6detail18constexpr_for_implIZZNS1_11reduce_implILb1ENS0_14default_configEN6thrust23THRUST_200600_302600_NS11hip_rocprim26transform_input_iterator_tIfNS6_17counting_iteratorIiNS6_11use_defaultESA_SA_EE11estimate_piEEPffNS6_4plusIfEEEE10hipError_tPvRmT1_T2_T3_mT4_P12ihipStream_tbENUlT_E1_clINS1_13target_configIS4_NS1_22reduce_config_selectorIfEENS1_11comp_targetILNS1_3genE0ELNS1_11target_archE4294967295ELNS1_3gpuE0ELNS1_3repE0EEELNS0_4arch9wavefront6targetE0EEEEEDaSQ_EUlSQ_E_TnDaLi0ETnDaLi1EJLm0ELm1ELm2ELm3ELm4ELm5EEEEvOSQ_St16integer_sequenceImJXspT2_EEE.has_indirect_call, 0
	.section	.AMDGPU.csdata,"",@progbits
; Function info:
; codeLenInByte = 175476
; TotalNumSgprs: 94
; NumVgprs: 71
; ScratchSize: 0
; MemoryBound: 0
	.section	.text._ZN7rocprim17ROCPRIM_400000_NS6detail17trampoline_kernelINS0_14default_configENS1_22reduce_config_selectorIfEEZNS1_11reduce_implILb1ES3_N6thrust23THRUST_200600_302600_NS11hip_rocprim26transform_input_iterator_tIfNS8_17counting_iteratorIiNS8_11use_defaultESC_SC_EE11estimate_piEEPffNS8_4plusIfEEEE10hipError_tPvRmT1_T2_T3_mT4_P12ihipStream_tbEUlT_E1_NS1_11comp_targetILNS1_3genE0ELNS1_11target_archE4294967295ELNS1_3gpuE0ELNS1_3repE0EEENS1_30default_config_static_selectorELNS0_4arch9wavefront6targetE0EEEvSM_,"axG",@progbits,_ZN7rocprim17ROCPRIM_400000_NS6detail17trampoline_kernelINS0_14default_configENS1_22reduce_config_selectorIfEEZNS1_11reduce_implILb1ES3_N6thrust23THRUST_200600_302600_NS11hip_rocprim26transform_input_iterator_tIfNS8_17counting_iteratorIiNS8_11use_defaultESC_SC_EE11estimate_piEEPffNS8_4plusIfEEEE10hipError_tPvRmT1_T2_T3_mT4_P12ihipStream_tbEUlT_E1_NS1_11comp_targetILNS1_3genE0ELNS1_11target_archE4294967295ELNS1_3gpuE0ELNS1_3repE0EEENS1_30default_config_static_selectorELNS0_4arch9wavefront6targetE0EEEvSM_,comdat
	.protected	_ZN7rocprim17ROCPRIM_400000_NS6detail17trampoline_kernelINS0_14default_configENS1_22reduce_config_selectorIfEEZNS1_11reduce_implILb1ES3_N6thrust23THRUST_200600_302600_NS11hip_rocprim26transform_input_iterator_tIfNS8_17counting_iteratorIiNS8_11use_defaultESC_SC_EE11estimate_piEEPffNS8_4plusIfEEEE10hipError_tPvRmT1_T2_T3_mT4_P12ihipStream_tbEUlT_E1_NS1_11comp_targetILNS1_3genE0ELNS1_11target_archE4294967295ELNS1_3gpuE0ELNS1_3repE0EEENS1_30default_config_static_selectorELNS0_4arch9wavefront6targetE0EEEvSM_ ; -- Begin function _ZN7rocprim17ROCPRIM_400000_NS6detail17trampoline_kernelINS0_14default_configENS1_22reduce_config_selectorIfEEZNS1_11reduce_implILb1ES3_N6thrust23THRUST_200600_302600_NS11hip_rocprim26transform_input_iterator_tIfNS8_17counting_iteratorIiNS8_11use_defaultESC_SC_EE11estimate_piEEPffNS8_4plusIfEEEE10hipError_tPvRmT1_T2_T3_mT4_P12ihipStream_tbEUlT_E1_NS1_11comp_targetILNS1_3genE0ELNS1_11target_archE4294967295ELNS1_3gpuE0ELNS1_3repE0EEENS1_30default_config_static_selectorELNS0_4arch9wavefront6targetE0EEEvSM_
	.globl	_ZN7rocprim17ROCPRIM_400000_NS6detail17trampoline_kernelINS0_14default_configENS1_22reduce_config_selectorIfEEZNS1_11reduce_implILb1ES3_N6thrust23THRUST_200600_302600_NS11hip_rocprim26transform_input_iterator_tIfNS8_17counting_iteratorIiNS8_11use_defaultESC_SC_EE11estimate_piEEPffNS8_4plusIfEEEE10hipError_tPvRmT1_T2_T3_mT4_P12ihipStream_tbEUlT_E1_NS1_11comp_targetILNS1_3genE0ELNS1_11target_archE4294967295ELNS1_3gpuE0ELNS1_3repE0EEENS1_30default_config_static_selectorELNS0_4arch9wavefront6targetE0EEEvSM_
	.p2align	8
	.type	_ZN7rocprim17ROCPRIM_400000_NS6detail17trampoline_kernelINS0_14default_configENS1_22reduce_config_selectorIfEEZNS1_11reduce_implILb1ES3_N6thrust23THRUST_200600_302600_NS11hip_rocprim26transform_input_iterator_tIfNS8_17counting_iteratorIiNS8_11use_defaultESC_SC_EE11estimate_piEEPffNS8_4plusIfEEEE10hipError_tPvRmT1_T2_T3_mT4_P12ihipStream_tbEUlT_E1_NS1_11comp_targetILNS1_3genE0ELNS1_11target_archE4294967295ELNS1_3gpuE0ELNS1_3repE0EEENS1_30default_config_static_selectorELNS0_4arch9wavefront6targetE0EEEvSM_,@function
_ZN7rocprim17ROCPRIM_400000_NS6detail17trampoline_kernelINS0_14default_configENS1_22reduce_config_selectorIfEEZNS1_11reduce_implILb1ES3_N6thrust23THRUST_200600_302600_NS11hip_rocprim26transform_input_iterator_tIfNS8_17counting_iteratorIiNS8_11use_defaultESC_SC_EE11estimate_piEEPffNS8_4plusIfEEEE10hipError_tPvRmT1_T2_T3_mT4_P12ihipStream_tbEUlT_E1_NS1_11comp_targetILNS1_3genE0ELNS1_11target_archE4294967295ELNS1_3gpuE0ELNS1_3repE0EEENS1_30default_config_static_selectorELNS0_4arch9wavefront6targetE0EEEvSM_: ; @_ZN7rocprim17ROCPRIM_400000_NS6detail17trampoline_kernelINS0_14default_configENS1_22reduce_config_selectorIfEEZNS1_11reduce_implILb1ES3_N6thrust23THRUST_200600_302600_NS11hip_rocprim26transform_input_iterator_tIfNS8_17counting_iteratorIiNS8_11use_defaultESC_SC_EE11estimate_piEEPffNS8_4plusIfEEEE10hipError_tPvRmT1_T2_T3_mT4_P12ihipStream_tbEUlT_E1_NS1_11comp_targetILNS1_3genE0ELNS1_11target_archE4294967295ELNS1_3gpuE0ELNS1_3repE0EEENS1_30default_config_static_selectorELNS0_4arch9wavefront6targetE0EEEvSM_
; %bb.0:
	s_load_b256 s[12:19], s[0:1], 0x0
	v_mbcnt_lo_u32_b32 v1, -1, 0
	s_load_b128 s[4:7], s[0:1], 0x18
	v_dual_mov_b32 v31, v0 :: v_dual_mov_b32 v0, 48
	s_get_pc_i64 s[2:3]
	s_add_nc_u64 s[2:3], s[2:3], _ZN7rocprim17ROCPRIM_400000_NS6detail18constexpr_for_implIZZNS1_11reduce_implILb1ENS0_14default_configEN6thrust23THRUST_200600_302600_NS11hip_rocprim26transform_input_iterator_tIfNS6_17counting_iteratorIiNS6_11use_defaultESA_SA_EE11estimate_piEEPffNS6_4plusIfEEEE10hipError_tPvRmT1_T2_T3_mT4_P12ihipStream_tbENUlT_E1_clINS1_13target_configIS4_NS1_22reduce_config_selectorIfEENS1_11comp_targetILNS1_3genE0ELNS1_11target_archE4294967295ELNS1_3gpuE0ELNS1_3repE0EEELNS0_4arch9wavefront6targetE0EEEEEDaSQ_EUlSQ_E_TnDaLi0ETnDaLi1EJLm0ELm1ELm2ELm3ELm4ELm5EEEEvOSQ_St16integer_sequenceImJXspT2_EEE@rel64+4
	v_lshlrev_b32_e32 v1, 20, v1
	s_add_nc_u64 s[8:9], s[0:1], 40
	s_movk_i32 s32, 0x60
	s_delay_alu instid0(VALU_DEP_1) | instskip(SKIP_1) | instid1(VALU_DEP_1)
	v_add_nc_u64_e32 v[12:13], src_flat_scratch_base_lo, v[0:1]
	v_mov_b32_e32 v0, 0
	v_add_nc_u64_e32 v[0:1], src_flat_scratch_base_lo, v[0:1]
	s_delay_alu instid0(VALU_DEP_3)
	v_add_nc_u64_e32 v[2:3], 4, v[12:13]
	v_add_nc_u64_e32 v[4:5], 8, v[12:13]
	;; [unrolled: 1-line block ×6, first 2 shown]
	s_wait_kmcnt 0x0
	v_mov_b64_e32 v[16:17], s[14:15]
	v_mov_b64_e32 v[14:15], s[12:13]
	;; [unrolled: 1-line block ×6, first 2 shown]
	s_clause 0x5
	scratch_store_b128 off, v[2:5], off
	scratch_store_b128 off, v[6:9], off offset:16
	scratch_store_b128 off, v[10:13], off offset:32
	scratch_store_b128 off, v[14:17], off offset:48
	scratch_store_b128 off, v[18:21], off offset:64
	scratch_store_b128 off, v[22:25], off offset:72
	s_swap_pc_i64 s[30:31], s[2:3]
	s_endpgm
	.section	.rodata,"a",@progbits
	.p2align	6, 0x0
	.amdhsa_kernel _ZN7rocprim17ROCPRIM_400000_NS6detail17trampoline_kernelINS0_14default_configENS1_22reduce_config_selectorIfEEZNS1_11reduce_implILb1ES3_N6thrust23THRUST_200600_302600_NS11hip_rocprim26transform_input_iterator_tIfNS8_17counting_iteratorIiNS8_11use_defaultESC_SC_EE11estimate_piEEPffNS8_4plusIfEEEE10hipError_tPvRmT1_T2_T3_mT4_P12ihipStream_tbEUlT_E1_NS1_11comp_targetILNS1_3genE0ELNS1_11target_archE4294967295ELNS1_3gpuE0ELNS1_3repE0EEENS1_30default_config_static_selectorELNS0_4arch9wavefront6targetE0EEEvSM_
		.amdhsa_group_segment_fixed_size 224
		.amdhsa_private_segment_fixed_size 96
		.amdhsa_kernarg_size 296
		.amdhsa_user_sgpr_count 2
		.amdhsa_user_sgpr_dispatch_ptr 0
		.amdhsa_user_sgpr_queue_ptr 0
		.amdhsa_user_sgpr_kernarg_segment_ptr 1
		.amdhsa_user_sgpr_dispatch_id 0
		.amdhsa_user_sgpr_kernarg_preload_length 0
		.amdhsa_user_sgpr_kernarg_preload_offset 0
		.amdhsa_user_sgpr_private_segment_size 0
		.amdhsa_wavefront_size32 1
		.amdhsa_uses_dynamic_stack 0
		.amdhsa_enable_private_segment 1
		.amdhsa_system_sgpr_workgroup_id_x 1
		.amdhsa_system_sgpr_workgroup_id_y 0
		.amdhsa_system_sgpr_workgroup_id_z 0
		.amdhsa_system_sgpr_workgroup_info 0
		.amdhsa_system_vgpr_workitem_id 0
		.amdhsa_next_free_vgpr 71
		.amdhsa_next_free_sgpr 92
		.amdhsa_named_barrier_count 0
		.amdhsa_reserve_vcc 1
		.amdhsa_float_round_mode_32 0
		.amdhsa_float_round_mode_16_64 0
		.amdhsa_float_denorm_mode_32 3
		.amdhsa_float_denorm_mode_16_64 3
		.amdhsa_fp16_overflow 0
		.amdhsa_memory_ordered 1
		.amdhsa_forward_progress 1
		.amdhsa_inst_pref_size 2
		.amdhsa_round_robin_scheduling 0
		.amdhsa_exception_fp_ieee_invalid_op 0
		.amdhsa_exception_fp_denorm_src 0
		.amdhsa_exception_fp_ieee_div_zero 0
		.amdhsa_exception_fp_ieee_overflow 0
		.amdhsa_exception_fp_ieee_underflow 0
		.amdhsa_exception_fp_ieee_inexact 0
		.amdhsa_exception_int_div_zero 0
	.end_amdhsa_kernel
	.section	.text._ZN7rocprim17ROCPRIM_400000_NS6detail17trampoline_kernelINS0_14default_configENS1_22reduce_config_selectorIfEEZNS1_11reduce_implILb1ES3_N6thrust23THRUST_200600_302600_NS11hip_rocprim26transform_input_iterator_tIfNS8_17counting_iteratorIiNS8_11use_defaultESC_SC_EE11estimate_piEEPffNS8_4plusIfEEEE10hipError_tPvRmT1_T2_T3_mT4_P12ihipStream_tbEUlT_E1_NS1_11comp_targetILNS1_3genE0ELNS1_11target_archE4294967295ELNS1_3gpuE0ELNS1_3repE0EEENS1_30default_config_static_selectorELNS0_4arch9wavefront6targetE0EEEvSM_,"axG",@progbits,_ZN7rocprim17ROCPRIM_400000_NS6detail17trampoline_kernelINS0_14default_configENS1_22reduce_config_selectorIfEEZNS1_11reduce_implILb1ES3_N6thrust23THRUST_200600_302600_NS11hip_rocprim26transform_input_iterator_tIfNS8_17counting_iteratorIiNS8_11use_defaultESC_SC_EE11estimate_piEEPffNS8_4plusIfEEEE10hipError_tPvRmT1_T2_T3_mT4_P12ihipStream_tbEUlT_E1_NS1_11comp_targetILNS1_3genE0ELNS1_11target_archE4294967295ELNS1_3gpuE0ELNS1_3repE0EEENS1_30default_config_static_selectorELNS0_4arch9wavefront6targetE0EEEvSM_,comdat
.Lfunc_end28:
	.size	_ZN7rocprim17ROCPRIM_400000_NS6detail17trampoline_kernelINS0_14default_configENS1_22reduce_config_selectorIfEEZNS1_11reduce_implILb1ES3_N6thrust23THRUST_200600_302600_NS11hip_rocprim26transform_input_iterator_tIfNS8_17counting_iteratorIiNS8_11use_defaultESC_SC_EE11estimate_piEEPffNS8_4plusIfEEEE10hipError_tPvRmT1_T2_T3_mT4_P12ihipStream_tbEUlT_E1_NS1_11comp_targetILNS1_3genE0ELNS1_11target_archE4294967295ELNS1_3gpuE0ELNS1_3repE0EEENS1_30default_config_static_selectorELNS0_4arch9wavefront6targetE0EEEvSM_, .Lfunc_end28-_ZN7rocprim17ROCPRIM_400000_NS6detail17trampoline_kernelINS0_14default_configENS1_22reduce_config_selectorIfEEZNS1_11reduce_implILb1ES3_N6thrust23THRUST_200600_302600_NS11hip_rocprim26transform_input_iterator_tIfNS8_17counting_iteratorIiNS8_11use_defaultESC_SC_EE11estimate_piEEPffNS8_4plusIfEEEE10hipError_tPvRmT1_T2_T3_mT4_P12ihipStream_tbEUlT_E1_NS1_11comp_targetILNS1_3genE0ELNS1_11target_archE4294967295ELNS1_3gpuE0ELNS1_3repE0EEENS1_30default_config_static_selectorELNS0_4arch9wavefront6targetE0EEEvSM_
                                        ; -- End function
	.set _ZN7rocprim17ROCPRIM_400000_NS6detail17trampoline_kernelINS0_14default_configENS1_22reduce_config_selectorIfEEZNS1_11reduce_implILb1ES3_N6thrust23THRUST_200600_302600_NS11hip_rocprim26transform_input_iterator_tIfNS8_17counting_iteratorIiNS8_11use_defaultESC_SC_EE11estimate_piEEPffNS8_4plusIfEEEE10hipError_tPvRmT1_T2_T3_mT4_P12ihipStream_tbEUlT_E1_NS1_11comp_targetILNS1_3genE0ELNS1_11target_archE4294967295ELNS1_3gpuE0ELNS1_3repE0EEENS1_30default_config_static_selectorELNS0_4arch9wavefront6targetE0EEEvSM_.num_vgpr, max(32, .L_ZN7rocprim17ROCPRIM_400000_NS6detail18constexpr_for_implIZZNS1_11reduce_implILb1ENS0_14default_configEN6thrust23THRUST_200600_302600_NS11hip_rocprim26transform_input_iterator_tIfNS6_17counting_iteratorIiNS6_11use_defaultESA_SA_EE11estimate_piEEPffNS6_4plusIfEEEE10hipError_tPvRmT1_T2_T3_mT4_P12ihipStream_tbENUlT_E1_clINS1_13target_configIS4_NS1_22reduce_config_selectorIfEENS1_11comp_targetILNS1_3genE0ELNS1_11target_archE4294967295ELNS1_3gpuE0ELNS1_3repE0EEELNS0_4arch9wavefront6targetE0EEEEEDaSQ_EUlSQ_E_TnDaLi0ETnDaLi1EJLm0ELm1ELm2ELm3ELm4ELm5EEEEvOSQ_St16integer_sequenceImJXspT2_EEE.num_vgpr)
	.set _ZN7rocprim17ROCPRIM_400000_NS6detail17trampoline_kernelINS0_14default_configENS1_22reduce_config_selectorIfEEZNS1_11reduce_implILb1ES3_N6thrust23THRUST_200600_302600_NS11hip_rocprim26transform_input_iterator_tIfNS8_17counting_iteratorIiNS8_11use_defaultESC_SC_EE11estimate_piEEPffNS8_4plusIfEEEE10hipError_tPvRmT1_T2_T3_mT4_P12ihipStream_tbEUlT_E1_NS1_11comp_targetILNS1_3genE0ELNS1_11target_archE4294967295ELNS1_3gpuE0ELNS1_3repE0EEENS1_30default_config_static_selectorELNS0_4arch9wavefront6targetE0EEEvSM_.num_agpr, max(0, .L_ZN7rocprim17ROCPRIM_400000_NS6detail18constexpr_for_implIZZNS1_11reduce_implILb1ENS0_14default_configEN6thrust23THRUST_200600_302600_NS11hip_rocprim26transform_input_iterator_tIfNS6_17counting_iteratorIiNS6_11use_defaultESA_SA_EE11estimate_piEEPffNS6_4plusIfEEEE10hipError_tPvRmT1_T2_T3_mT4_P12ihipStream_tbENUlT_E1_clINS1_13target_configIS4_NS1_22reduce_config_selectorIfEENS1_11comp_targetILNS1_3genE0ELNS1_11target_archE4294967295ELNS1_3gpuE0ELNS1_3repE0EEELNS0_4arch9wavefront6targetE0EEEEEDaSQ_EUlSQ_E_TnDaLi0ETnDaLi1EJLm0ELm1ELm2ELm3ELm4ELm5EEEEvOSQ_St16integer_sequenceImJXspT2_EEE.num_agpr)
	.set _ZN7rocprim17ROCPRIM_400000_NS6detail17trampoline_kernelINS0_14default_configENS1_22reduce_config_selectorIfEEZNS1_11reduce_implILb1ES3_N6thrust23THRUST_200600_302600_NS11hip_rocprim26transform_input_iterator_tIfNS8_17counting_iteratorIiNS8_11use_defaultESC_SC_EE11estimate_piEEPffNS8_4plusIfEEEE10hipError_tPvRmT1_T2_T3_mT4_P12ihipStream_tbEUlT_E1_NS1_11comp_targetILNS1_3genE0ELNS1_11target_archE4294967295ELNS1_3gpuE0ELNS1_3repE0EEENS1_30default_config_static_selectorELNS0_4arch9wavefront6targetE0EEEvSM_.numbered_sgpr, max(33, .L_ZN7rocprim17ROCPRIM_400000_NS6detail18constexpr_for_implIZZNS1_11reduce_implILb1ENS0_14default_configEN6thrust23THRUST_200600_302600_NS11hip_rocprim26transform_input_iterator_tIfNS6_17counting_iteratorIiNS6_11use_defaultESA_SA_EE11estimate_piEEPffNS6_4plusIfEEEE10hipError_tPvRmT1_T2_T3_mT4_P12ihipStream_tbENUlT_E1_clINS1_13target_configIS4_NS1_22reduce_config_selectorIfEENS1_11comp_targetILNS1_3genE0ELNS1_11target_archE4294967295ELNS1_3gpuE0ELNS1_3repE0EEELNS0_4arch9wavefront6targetE0EEEEEDaSQ_EUlSQ_E_TnDaLi0ETnDaLi1EJLm0ELm1ELm2ELm3ELm4ELm5EEEEvOSQ_St16integer_sequenceImJXspT2_EEE.numbered_sgpr)
	.set _ZN7rocprim17ROCPRIM_400000_NS6detail17trampoline_kernelINS0_14default_configENS1_22reduce_config_selectorIfEEZNS1_11reduce_implILb1ES3_N6thrust23THRUST_200600_302600_NS11hip_rocprim26transform_input_iterator_tIfNS8_17counting_iteratorIiNS8_11use_defaultESC_SC_EE11estimate_piEEPffNS8_4plusIfEEEE10hipError_tPvRmT1_T2_T3_mT4_P12ihipStream_tbEUlT_E1_NS1_11comp_targetILNS1_3genE0ELNS1_11target_archE4294967295ELNS1_3gpuE0ELNS1_3repE0EEENS1_30default_config_static_selectorELNS0_4arch9wavefront6targetE0EEEvSM_.num_named_barrier, max(0, .L_ZN7rocprim17ROCPRIM_400000_NS6detail18constexpr_for_implIZZNS1_11reduce_implILb1ENS0_14default_configEN6thrust23THRUST_200600_302600_NS11hip_rocprim26transform_input_iterator_tIfNS6_17counting_iteratorIiNS6_11use_defaultESA_SA_EE11estimate_piEEPffNS6_4plusIfEEEE10hipError_tPvRmT1_T2_T3_mT4_P12ihipStream_tbENUlT_E1_clINS1_13target_configIS4_NS1_22reduce_config_selectorIfEENS1_11comp_targetILNS1_3genE0ELNS1_11target_archE4294967295ELNS1_3gpuE0ELNS1_3repE0EEELNS0_4arch9wavefront6targetE0EEEEEDaSQ_EUlSQ_E_TnDaLi0ETnDaLi1EJLm0ELm1ELm2ELm3ELm4ELm5EEEEvOSQ_St16integer_sequenceImJXspT2_EEE.num_named_barrier)
	.set _ZN7rocprim17ROCPRIM_400000_NS6detail17trampoline_kernelINS0_14default_configENS1_22reduce_config_selectorIfEEZNS1_11reduce_implILb1ES3_N6thrust23THRUST_200600_302600_NS11hip_rocprim26transform_input_iterator_tIfNS8_17counting_iteratorIiNS8_11use_defaultESC_SC_EE11estimate_piEEPffNS8_4plusIfEEEE10hipError_tPvRmT1_T2_T3_mT4_P12ihipStream_tbEUlT_E1_NS1_11comp_targetILNS1_3genE0ELNS1_11target_archE4294967295ELNS1_3gpuE0ELNS1_3repE0EEENS1_30default_config_static_selectorELNS0_4arch9wavefront6targetE0EEEvSM_.private_seg_size, 96+max(.L_ZN7rocprim17ROCPRIM_400000_NS6detail18constexpr_for_implIZZNS1_11reduce_implILb1ENS0_14default_configEN6thrust23THRUST_200600_302600_NS11hip_rocprim26transform_input_iterator_tIfNS6_17counting_iteratorIiNS6_11use_defaultESA_SA_EE11estimate_piEEPffNS6_4plusIfEEEE10hipError_tPvRmT1_T2_T3_mT4_P12ihipStream_tbENUlT_E1_clINS1_13target_configIS4_NS1_22reduce_config_selectorIfEENS1_11comp_targetILNS1_3genE0ELNS1_11target_archE4294967295ELNS1_3gpuE0ELNS1_3repE0EEELNS0_4arch9wavefront6targetE0EEEEEDaSQ_EUlSQ_E_TnDaLi0ETnDaLi1EJLm0ELm1ELm2ELm3ELm4ELm5EEEEvOSQ_St16integer_sequenceImJXspT2_EEE.private_seg_size)
	.set _ZN7rocprim17ROCPRIM_400000_NS6detail17trampoline_kernelINS0_14default_configENS1_22reduce_config_selectorIfEEZNS1_11reduce_implILb1ES3_N6thrust23THRUST_200600_302600_NS11hip_rocprim26transform_input_iterator_tIfNS8_17counting_iteratorIiNS8_11use_defaultESC_SC_EE11estimate_piEEPffNS8_4plusIfEEEE10hipError_tPvRmT1_T2_T3_mT4_P12ihipStream_tbEUlT_E1_NS1_11comp_targetILNS1_3genE0ELNS1_11target_archE4294967295ELNS1_3gpuE0ELNS1_3repE0EEENS1_30default_config_static_selectorELNS0_4arch9wavefront6targetE0EEEvSM_.uses_vcc, or(1, .L_ZN7rocprim17ROCPRIM_400000_NS6detail18constexpr_for_implIZZNS1_11reduce_implILb1ENS0_14default_configEN6thrust23THRUST_200600_302600_NS11hip_rocprim26transform_input_iterator_tIfNS6_17counting_iteratorIiNS6_11use_defaultESA_SA_EE11estimate_piEEPffNS6_4plusIfEEEE10hipError_tPvRmT1_T2_T3_mT4_P12ihipStream_tbENUlT_E1_clINS1_13target_configIS4_NS1_22reduce_config_selectorIfEENS1_11comp_targetILNS1_3genE0ELNS1_11target_archE4294967295ELNS1_3gpuE0ELNS1_3repE0EEELNS0_4arch9wavefront6targetE0EEEEEDaSQ_EUlSQ_E_TnDaLi0ETnDaLi1EJLm0ELm1ELm2ELm3ELm4ELm5EEEEvOSQ_St16integer_sequenceImJXspT2_EEE.uses_vcc)
	.set _ZN7rocprim17ROCPRIM_400000_NS6detail17trampoline_kernelINS0_14default_configENS1_22reduce_config_selectorIfEEZNS1_11reduce_implILb1ES3_N6thrust23THRUST_200600_302600_NS11hip_rocprim26transform_input_iterator_tIfNS8_17counting_iteratorIiNS8_11use_defaultESC_SC_EE11estimate_piEEPffNS8_4plusIfEEEE10hipError_tPvRmT1_T2_T3_mT4_P12ihipStream_tbEUlT_E1_NS1_11comp_targetILNS1_3genE0ELNS1_11target_archE4294967295ELNS1_3gpuE0ELNS1_3repE0EEENS1_30default_config_static_selectorELNS0_4arch9wavefront6targetE0EEEvSM_.uses_flat_scratch, or(1, .L_ZN7rocprim17ROCPRIM_400000_NS6detail18constexpr_for_implIZZNS1_11reduce_implILb1ENS0_14default_configEN6thrust23THRUST_200600_302600_NS11hip_rocprim26transform_input_iterator_tIfNS6_17counting_iteratorIiNS6_11use_defaultESA_SA_EE11estimate_piEEPffNS6_4plusIfEEEE10hipError_tPvRmT1_T2_T3_mT4_P12ihipStream_tbENUlT_E1_clINS1_13target_configIS4_NS1_22reduce_config_selectorIfEENS1_11comp_targetILNS1_3genE0ELNS1_11target_archE4294967295ELNS1_3gpuE0ELNS1_3repE0EEELNS0_4arch9wavefront6targetE0EEEEEDaSQ_EUlSQ_E_TnDaLi0ETnDaLi1EJLm0ELm1ELm2ELm3ELm4ELm5EEEEvOSQ_St16integer_sequenceImJXspT2_EEE.uses_flat_scratch)
	.set _ZN7rocprim17ROCPRIM_400000_NS6detail17trampoline_kernelINS0_14default_configENS1_22reduce_config_selectorIfEEZNS1_11reduce_implILb1ES3_N6thrust23THRUST_200600_302600_NS11hip_rocprim26transform_input_iterator_tIfNS8_17counting_iteratorIiNS8_11use_defaultESC_SC_EE11estimate_piEEPffNS8_4plusIfEEEE10hipError_tPvRmT1_T2_T3_mT4_P12ihipStream_tbEUlT_E1_NS1_11comp_targetILNS1_3genE0ELNS1_11target_archE4294967295ELNS1_3gpuE0ELNS1_3repE0EEENS1_30default_config_static_selectorELNS0_4arch9wavefront6targetE0EEEvSM_.has_dyn_sized_stack, or(0, .L_ZN7rocprim17ROCPRIM_400000_NS6detail18constexpr_for_implIZZNS1_11reduce_implILb1ENS0_14default_configEN6thrust23THRUST_200600_302600_NS11hip_rocprim26transform_input_iterator_tIfNS6_17counting_iteratorIiNS6_11use_defaultESA_SA_EE11estimate_piEEPffNS6_4plusIfEEEE10hipError_tPvRmT1_T2_T3_mT4_P12ihipStream_tbENUlT_E1_clINS1_13target_configIS4_NS1_22reduce_config_selectorIfEENS1_11comp_targetILNS1_3genE0ELNS1_11target_archE4294967295ELNS1_3gpuE0ELNS1_3repE0EEELNS0_4arch9wavefront6targetE0EEEEEDaSQ_EUlSQ_E_TnDaLi0ETnDaLi1EJLm0ELm1ELm2ELm3ELm4ELm5EEEEvOSQ_St16integer_sequenceImJXspT2_EEE.has_dyn_sized_stack)
	.set _ZN7rocprim17ROCPRIM_400000_NS6detail17trampoline_kernelINS0_14default_configENS1_22reduce_config_selectorIfEEZNS1_11reduce_implILb1ES3_N6thrust23THRUST_200600_302600_NS11hip_rocprim26transform_input_iterator_tIfNS8_17counting_iteratorIiNS8_11use_defaultESC_SC_EE11estimate_piEEPffNS8_4plusIfEEEE10hipError_tPvRmT1_T2_T3_mT4_P12ihipStream_tbEUlT_E1_NS1_11comp_targetILNS1_3genE0ELNS1_11target_archE4294967295ELNS1_3gpuE0ELNS1_3repE0EEENS1_30default_config_static_selectorELNS0_4arch9wavefront6targetE0EEEvSM_.has_recursion, or(0, .L_ZN7rocprim17ROCPRIM_400000_NS6detail18constexpr_for_implIZZNS1_11reduce_implILb1ENS0_14default_configEN6thrust23THRUST_200600_302600_NS11hip_rocprim26transform_input_iterator_tIfNS6_17counting_iteratorIiNS6_11use_defaultESA_SA_EE11estimate_piEEPffNS6_4plusIfEEEE10hipError_tPvRmT1_T2_T3_mT4_P12ihipStream_tbENUlT_E1_clINS1_13target_configIS4_NS1_22reduce_config_selectorIfEENS1_11comp_targetILNS1_3genE0ELNS1_11target_archE4294967295ELNS1_3gpuE0ELNS1_3repE0EEELNS0_4arch9wavefront6targetE0EEEEEDaSQ_EUlSQ_E_TnDaLi0ETnDaLi1EJLm0ELm1ELm2ELm3ELm4ELm5EEEEvOSQ_St16integer_sequenceImJXspT2_EEE.has_recursion)
	.set _ZN7rocprim17ROCPRIM_400000_NS6detail17trampoline_kernelINS0_14default_configENS1_22reduce_config_selectorIfEEZNS1_11reduce_implILb1ES3_N6thrust23THRUST_200600_302600_NS11hip_rocprim26transform_input_iterator_tIfNS8_17counting_iteratorIiNS8_11use_defaultESC_SC_EE11estimate_piEEPffNS8_4plusIfEEEE10hipError_tPvRmT1_T2_T3_mT4_P12ihipStream_tbEUlT_E1_NS1_11comp_targetILNS1_3genE0ELNS1_11target_archE4294967295ELNS1_3gpuE0ELNS1_3repE0EEENS1_30default_config_static_selectorELNS0_4arch9wavefront6targetE0EEEvSM_.has_indirect_call, or(0, .L_ZN7rocprim17ROCPRIM_400000_NS6detail18constexpr_for_implIZZNS1_11reduce_implILb1ENS0_14default_configEN6thrust23THRUST_200600_302600_NS11hip_rocprim26transform_input_iterator_tIfNS6_17counting_iteratorIiNS6_11use_defaultESA_SA_EE11estimate_piEEPffNS6_4plusIfEEEE10hipError_tPvRmT1_T2_T3_mT4_P12ihipStream_tbENUlT_E1_clINS1_13target_configIS4_NS1_22reduce_config_selectorIfEENS1_11comp_targetILNS1_3genE0ELNS1_11target_archE4294967295ELNS1_3gpuE0ELNS1_3repE0EEELNS0_4arch9wavefront6targetE0EEEEEDaSQ_EUlSQ_E_TnDaLi0ETnDaLi1EJLm0ELm1ELm2ELm3ELm4ELm5EEEEvOSQ_St16integer_sequenceImJXspT2_EEE.has_indirect_call)
	.section	.AMDGPU.csdata,"",@progbits
; Kernel info:
; codeLenInByte = 216
; TotalNumSgprs: 94
; NumVgprs: 71
; ScratchSize: 96
; MemoryBound: 0
; FloatMode: 240
; IeeeMode: 1
; LDSByteSize: 224 bytes/workgroup (compile time only)
; SGPRBlocks: 0
; VGPRBlocks: 4
; NumSGPRsForWavesPerEU: 94
; NumVGPRsForWavesPerEU: 71
; NamedBarCnt: 0
; Occupancy: 12
; WaveLimiterHint : 1
; COMPUTE_PGM_RSRC2:SCRATCH_EN: 1
; COMPUTE_PGM_RSRC2:USER_SGPR: 2
; COMPUTE_PGM_RSRC2:TRAP_HANDLER: 0
; COMPUTE_PGM_RSRC2:TGID_X_EN: 1
; COMPUTE_PGM_RSRC2:TGID_Y_EN: 0
; COMPUTE_PGM_RSRC2:TGID_Z_EN: 0
; COMPUTE_PGM_RSRC2:TIDIG_COMP_CNT: 0
	.section	.text._ZN7rocprim17ROCPRIM_400000_NS6detail17trampoline_kernelINS0_14default_configENS1_22reduce_config_selectorIfEEZNS1_11reduce_implILb1ES3_N6thrust23THRUST_200600_302600_NS11hip_rocprim26transform_input_iterator_tIfNS8_17counting_iteratorIiNS8_11use_defaultESC_SC_EE11estimate_piEEPffNS8_4plusIfEEEE10hipError_tPvRmT1_T2_T3_mT4_P12ihipStream_tbEUlT_E1_NS1_11comp_targetILNS1_3genE5ELNS1_11target_archE942ELNS1_3gpuE9ELNS1_3repE0EEENS1_30default_config_static_selectorELNS0_4arch9wavefront6targetE0EEEvSM_,"axG",@progbits,_ZN7rocprim17ROCPRIM_400000_NS6detail17trampoline_kernelINS0_14default_configENS1_22reduce_config_selectorIfEEZNS1_11reduce_implILb1ES3_N6thrust23THRUST_200600_302600_NS11hip_rocprim26transform_input_iterator_tIfNS8_17counting_iteratorIiNS8_11use_defaultESC_SC_EE11estimate_piEEPffNS8_4plusIfEEEE10hipError_tPvRmT1_T2_T3_mT4_P12ihipStream_tbEUlT_E1_NS1_11comp_targetILNS1_3genE5ELNS1_11target_archE942ELNS1_3gpuE9ELNS1_3repE0EEENS1_30default_config_static_selectorELNS0_4arch9wavefront6targetE0EEEvSM_,comdat
	.protected	_ZN7rocprim17ROCPRIM_400000_NS6detail17trampoline_kernelINS0_14default_configENS1_22reduce_config_selectorIfEEZNS1_11reduce_implILb1ES3_N6thrust23THRUST_200600_302600_NS11hip_rocprim26transform_input_iterator_tIfNS8_17counting_iteratorIiNS8_11use_defaultESC_SC_EE11estimate_piEEPffNS8_4plusIfEEEE10hipError_tPvRmT1_T2_T3_mT4_P12ihipStream_tbEUlT_E1_NS1_11comp_targetILNS1_3genE5ELNS1_11target_archE942ELNS1_3gpuE9ELNS1_3repE0EEENS1_30default_config_static_selectorELNS0_4arch9wavefront6targetE0EEEvSM_ ; -- Begin function _ZN7rocprim17ROCPRIM_400000_NS6detail17trampoline_kernelINS0_14default_configENS1_22reduce_config_selectorIfEEZNS1_11reduce_implILb1ES3_N6thrust23THRUST_200600_302600_NS11hip_rocprim26transform_input_iterator_tIfNS8_17counting_iteratorIiNS8_11use_defaultESC_SC_EE11estimate_piEEPffNS8_4plusIfEEEE10hipError_tPvRmT1_T2_T3_mT4_P12ihipStream_tbEUlT_E1_NS1_11comp_targetILNS1_3genE5ELNS1_11target_archE942ELNS1_3gpuE9ELNS1_3repE0EEENS1_30default_config_static_selectorELNS0_4arch9wavefront6targetE0EEEvSM_
	.globl	_ZN7rocprim17ROCPRIM_400000_NS6detail17trampoline_kernelINS0_14default_configENS1_22reduce_config_selectorIfEEZNS1_11reduce_implILb1ES3_N6thrust23THRUST_200600_302600_NS11hip_rocprim26transform_input_iterator_tIfNS8_17counting_iteratorIiNS8_11use_defaultESC_SC_EE11estimate_piEEPffNS8_4plusIfEEEE10hipError_tPvRmT1_T2_T3_mT4_P12ihipStream_tbEUlT_E1_NS1_11comp_targetILNS1_3genE5ELNS1_11target_archE942ELNS1_3gpuE9ELNS1_3repE0EEENS1_30default_config_static_selectorELNS0_4arch9wavefront6targetE0EEEvSM_
	.p2align	8
	.type	_ZN7rocprim17ROCPRIM_400000_NS6detail17trampoline_kernelINS0_14default_configENS1_22reduce_config_selectorIfEEZNS1_11reduce_implILb1ES3_N6thrust23THRUST_200600_302600_NS11hip_rocprim26transform_input_iterator_tIfNS8_17counting_iteratorIiNS8_11use_defaultESC_SC_EE11estimate_piEEPffNS8_4plusIfEEEE10hipError_tPvRmT1_T2_T3_mT4_P12ihipStream_tbEUlT_E1_NS1_11comp_targetILNS1_3genE5ELNS1_11target_archE942ELNS1_3gpuE9ELNS1_3repE0EEENS1_30default_config_static_selectorELNS0_4arch9wavefront6targetE0EEEvSM_,@function
_ZN7rocprim17ROCPRIM_400000_NS6detail17trampoline_kernelINS0_14default_configENS1_22reduce_config_selectorIfEEZNS1_11reduce_implILb1ES3_N6thrust23THRUST_200600_302600_NS11hip_rocprim26transform_input_iterator_tIfNS8_17counting_iteratorIiNS8_11use_defaultESC_SC_EE11estimate_piEEPffNS8_4plusIfEEEE10hipError_tPvRmT1_T2_T3_mT4_P12ihipStream_tbEUlT_E1_NS1_11comp_targetILNS1_3genE5ELNS1_11target_archE942ELNS1_3gpuE9ELNS1_3repE0EEENS1_30default_config_static_selectorELNS0_4arch9wavefront6targetE0EEEvSM_: ; @_ZN7rocprim17ROCPRIM_400000_NS6detail17trampoline_kernelINS0_14default_configENS1_22reduce_config_selectorIfEEZNS1_11reduce_implILb1ES3_N6thrust23THRUST_200600_302600_NS11hip_rocprim26transform_input_iterator_tIfNS8_17counting_iteratorIiNS8_11use_defaultESC_SC_EE11estimate_piEEPffNS8_4plusIfEEEE10hipError_tPvRmT1_T2_T3_mT4_P12ihipStream_tbEUlT_E1_NS1_11comp_targetILNS1_3genE5ELNS1_11target_archE942ELNS1_3gpuE9ELNS1_3repE0EEENS1_30default_config_static_selectorELNS0_4arch9wavefront6targetE0EEEvSM_
; %bb.0:
	.section	.rodata,"a",@progbits
	.p2align	6, 0x0
	.amdhsa_kernel _ZN7rocprim17ROCPRIM_400000_NS6detail17trampoline_kernelINS0_14default_configENS1_22reduce_config_selectorIfEEZNS1_11reduce_implILb1ES3_N6thrust23THRUST_200600_302600_NS11hip_rocprim26transform_input_iterator_tIfNS8_17counting_iteratorIiNS8_11use_defaultESC_SC_EE11estimate_piEEPffNS8_4plusIfEEEE10hipError_tPvRmT1_T2_T3_mT4_P12ihipStream_tbEUlT_E1_NS1_11comp_targetILNS1_3genE5ELNS1_11target_archE942ELNS1_3gpuE9ELNS1_3repE0EEENS1_30default_config_static_selectorELNS0_4arch9wavefront6targetE0EEEvSM_
		.amdhsa_group_segment_fixed_size 0
		.amdhsa_private_segment_fixed_size 0
		.amdhsa_kernarg_size 40
		.amdhsa_user_sgpr_count 2
		.amdhsa_user_sgpr_dispatch_ptr 0
		.amdhsa_user_sgpr_queue_ptr 0
		.amdhsa_user_sgpr_kernarg_segment_ptr 1
		.amdhsa_user_sgpr_dispatch_id 0
		.amdhsa_user_sgpr_kernarg_preload_length 0
		.amdhsa_user_sgpr_kernarg_preload_offset 0
		.amdhsa_user_sgpr_private_segment_size 0
		.amdhsa_wavefront_size32 1
		.amdhsa_uses_dynamic_stack 0
		.amdhsa_enable_private_segment 0
		.amdhsa_system_sgpr_workgroup_id_x 1
		.amdhsa_system_sgpr_workgroup_id_y 0
		.amdhsa_system_sgpr_workgroup_id_z 0
		.amdhsa_system_sgpr_workgroup_info 0
		.amdhsa_system_vgpr_workitem_id 0
		.amdhsa_next_free_vgpr 1
		.amdhsa_next_free_sgpr 1
		.amdhsa_named_barrier_count 0
		.amdhsa_reserve_vcc 0
		.amdhsa_float_round_mode_32 0
		.amdhsa_float_round_mode_16_64 0
		.amdhsa_float_denorm_mode_32 3
		.amdhsa_float_denorm_mode_16_64 3
		.amdhsa_fp16_overflow 0
		.amdhsa_memory_ordered 1
		.amdhsa_forward_progress 1
		.amdhsa_inst_pref_size 0
		.amdhsa_round_robin_scheduling 0
		.amdhsa_exception_fp_ieee_invalid_op 0
		.amdhsa_exception_fp_denorm_src 0
		.amdhsa_exception_fp_ieee_div_zero 0
		.amdhsa_exception_fp_ieee_overflow 0
		.amdhsa_exception_fp_ieee_underflow 0
		.amdhsa_exception_fp_ieee_inexact 0
		.amdhsa_exception_int_div_zero 0
	.end_amdhsa_kernel
	.section	.text._ZN7rocprim17ROCPRIM_400000_NS6detail17trampoline_kernelINS0_14default_configENS1_22reduce_config_selectorIfEEZNS1_11reduce_implILb1ES3_N6thrust23THRUST_200600_302600_NS11hip_rocprim26transform_input_iterator_tIfNS8_17counting_iteratorIiNS8_11use_defaultESC_SC_EE11estimate_piEEPffNS8_4plusIfEEEE10hipError_tPvRmT1_T2_T3_mT4_P12ihipStream_tbEUlT_E1_NS1_11comp_targetILNS1_3genE5ELNS1_11target_archE942ELNS1_3gpuE9ELNS1_3repE0EEENS1_30default_config_static_selectorELNS0_4arch9wavefront6targetE0EEEvSM_,"axG",@progbits,_ZN7rocprim17ROCPRIM_400000_NS6detail17trampoline_kernelINS0_14default_configENS1_22reduce_config_selectorIfEEZNS1_11reduce_implILb1ES3_N6thrust23THRUST_200600_302600_NS11hip_rocprim26transform_input_iterator_tIfNS8_17counting_iteratorIiNS8_11use_defaultESC_SC_EE11estimate_piEEPffNS8_4plusIfEEEE10hipError_tPvRmT1_T2_T3_mT4_P12ihipStream_tbEUlT_E1_NS1_11comp_targetILNS1_3genE5ELNS1_11target_archE942ELNS1_3gpuE9ELNS1_3repE0EEENS1_30default_config_static_selectorELNS0_4arch9wavefront6targetE0EEEvSM_,comdat
.Lfunc_end29:
	.size	_ZN7rocprim17ROCPRIM_400000_NS6detail17trampoline_kernelINS0_14default_configENS1_22reduce_config_selectorIfEEZNS1_11reduce_implILb1ES3_N6thrust23THRUST_200600_302600_NS11hip_rocprim26transform_input_iterator_tIfNS8_17counting_iteratorIiNS8_11use_defaultESC_SC_EE11estimate_piEEPffNS8_4plusIfEEEE10hipError_tPvRmT1_T2_T3_mT4_P12ihipStream_tbEUlT_E1_NS1_11comp_targetILNS1_3genE5ELNS1_11target_archE942ELNS1_3gpuE9ELNS1_3repE0EEENS1_30default_config_static_selectorELNS0_4arch9wavefront6targetE0EEEvSM_, .Lfunc_end29-_ZN7rocprim17ROCPRIM_400000_NS6detail17trampoline_kernelINS0_14default_configENS1_22reduce_config_selectorIfEEZNS1_11reduce_implILb1ES3_N6thrust23THRUST_200600_302600_NS11hip_rocprim26transform_input_iterator_tIfNS8_17counting_iteratorIiNS8_11use_defaultESC_SC_EE11estimate_piEEPffNS8_4plusIfEEEE10hipError_tPvRmT1_T2_T3_mT4_P12ihipStream_tbEUlT_E1_NS1_11comp_targetILNS1_3genE5ELNS1_11target_archE942ELNS1_3gpuE9ELNS1_3repE0EEENS1_30default_config_static_selectorELNS0_4arch9wavefront6targetE0EEEvSM_
                                        ; -- End function
	.set _ZN7rocprim17ROCPRIM_400000_NS6detail17trampoline_kernelINS0_14default_configENS1_22reduce_config_selectorIfEEZNS1_11reduce_implILb1ES3_N6thrust23THRUST_200600_302600_NS11hip_rocprim26transform_input_iterator_tIfNS8_17counting_iteratorIiNS8_11use_defaultESC_SC_EE11estimate_piEEPffNS8_4plusIfEEEE10hipError_tPvRmT1_T2_T3_mT4_P12ihipStream_tbEUlT_E1_NS1_11comp_targetILNS1_3genE5ELNS1_11target_archE942ELNS1_3gpuE9ELNS1_3repE0EEENS1_30default_config_static_selectorELNS0_4arch9wavefront6targetE0EEEvSM_.num_vgpr, 0
	.set _ZN7rocprim17ROCPRIM_400000_NS6detail17trampoline_kernelINS0_14default_configENS1_22reduce_config_selectorIfEEZNS1_11reduce_implILb1ES3_N6thrust23THRUST_200600_302600_NS11hip_rocprim26transform_input_iterator_tIfNS8_17counting_iteratorIiNS8_11use_defaultESC_SC_EE11estimate_piEEPffNS8_4plusIfEEEE10hipError_tPvRmT1_T2_T3_mT4_P12ihipStream_tbEUlT_E1_NS1_11comp_targetILNS1_3genE5ELNS1_11target_archE942ELNS1_3gpuE9ELNS1_3repE0EEENS1_30default_config_static_selectorELNS0_4arch9wavefront6targetE0EEEvSM_.num_agpr, 0
	.set _ZN7rocprim17ROCPRIM_400000_NS6detail17trampoline_kernelINS0_14default_configENS1_22reduce_config_selectorIfEEZNS1_11reduce_implILb1ES3_N6thrust23THRUST_200600_302600_NS11hip_rocprim26transform_input_iterator_tIfNS8_17counting_iteratorIiNS8_11use_defaultESC_SC_EE11estimate_piEEPffNS8_4plusIfEEEE10hipError_tPvRmT1_T2_T3_mT4_P12ihipStream_tbEUlT_E1_NS1_11comp_targetILNS1_3genE5ELNS1_11target_archE942ELNS1_3gpuE9ELNS1_3repE0EEENS1_30default_config_static_selectorELNS0_4arch9wavefront6targetE0EEEvSM_.numbered_sgpr, 0
	.set _ZN7rocprim17ROCPRIM_400000_NS6detail17trampoline_kernelINS0_14default_configENS1_22reduce_config_selectorIfEEZNS1_11reduce_implILb1ES3_N6thrust23THRUST_200600_302600_NS11hip_rocprim26transform_input_iterator_tIfNS8_17counting_iteratorIiNS8_11use_defaultESC_SC_EE11estimate_piEEPffNS8_4plusIfEEEE10hipError_tPvRmT1_T2_T3_mT4_P12ihipStream_tbEUlT_E1_NS1_11comp_targetILNS1_3genE5ELNS1_11target_archE942ELNS1_3gpuE9ELNS1_3repE0EEENS1_30default_config_static_selectorELNS0_4arch9wavefront6targetE0EEEvSM_.num_named_barrier, 0
	.set _ZN7rocprim17ROCPRIM_400000_NS6detail17trampoline_kernelINS0_14default_configENS1_22reduce_config_selectorIfEEZNS1_11reduce_implILb1ES3_N6thrust23THRUST_200600_302600_NS11hip_rocprim26transform_input_iterator_tIfNS8_17counting_iteratorIiNS8_11use_defaultESC_SC_EE11estimate_piEEPffNS8_4plusIfEEEE10hipError_tPvRmT1_T2_T3_mT4_P12ihipStream_tbEUlT_E1_NS1_11comp_targetILNS1_3genE5ELNS1_11target_archE942ELNS1_3gpuE9ELNS1_3repE0EEENS1_30default_config_static_selectorELNS0_4arch9wavefront6targetE0EEEvSM_.private_seg_size, 0
	.set _ZN7rocprim17ROCPRIM_400000_NS6detail17trampoline_kernelINS0_14default_configENS1_22reduce_config_selectorIfEEZNS1_11reduce_implILb1ES3_N6thrust23THRUST_200600_302600_NS11hip_rocprim26transform_input_iterator_tIfNS8_17counting_iteratorIiNS8_11use_defaultESC_SC_EE11estimate_piEEPffNS8_4plusIfEEEE10hipError_tPvRmT1_T2_T3_mT4_P12ihipStream_tbEUlT_E1_NS1_11comp_targetILNS1_3genE5ELNS1_11target_archE942ELNS1_3gpuE9ELNS1_3repE0EEENS1_30default_config_static_selectorELNS0_4arch9wavefront6targetE0EEEvSM_.uses_vcc, 0
	.set _ZN7rocprim17ROCPRIM_400000_NS6detail17trampoline_kernelINS0_14default_configENS1_22reduce_config_selectorIfEEZNS1_11reduce_implILb1ES3_N6thrust23THRUST_200600_302600_NS11hip_rocprim26transform_input_iterator_tIfNS8_17counting_iteratorIiNS8_11use_defaultESC_SC_EE11estimate_piEEPffNS8_4plusIfEEEE10hipError_tPvRmT1_T2_T3_mT4_P12ihipStream_tbEUlT_E1_NS1_11comp_targetILNS1_3genE5ELNS1_11target_archE942ELNS1_3gpuE9ELNS1_3repE0EEENS1_30default_config_static_selectorELNS0_4arch9wavefront6targetE0EEEvSM_.uses_flat_scratch, 0
	.set _ZN7rocprim17ROCPRIM_400000_NS6detail17trampoline_kernelINS0_14default_configENS1_22reduce_config_selectorIfEEZNS1_11reduce_implILb1ES3_N6thrust23THRUST_200600_302600_NS11hip_rocprim26transform_input_iterator_tIfNS8_17counting_iteratorIiNS8_11use_defaultESC_SC_EE11estimate_piEEPffNS8_4plusIfEEEE10hipError_tPvRmT1_T2_T3_mT4_P12ihipStream_tbEUlT_E1_NS1_11comp_targetILNS1_3genE5ELNS1_11target_archE942ELNS1_3gpuE9ELNS1_3repE0EEENS1_30default_config_static_selectorELNS0_4arch9wavefront6targetE0EEEvSM_.has_dyn_sized_stack, 0
	.set _ZN7rocprim17ROCPRIM_400000_NS6detail17trampoline_kernelINS0_14default_configENS1_22reduce_config_selectorIfEEZNS1_11reduce_implILb1ES3_N6thrust23THRUST_200600_302600_NS11hip_rocprim26transform_input_iterator_tIfNS8_17counting_iteratorIiNS8_11use_defaultESC_SC_EE11estimate_piEEPffNS8_4plusIfEEEE10hipError_tPvRmT1_T2_T3_mT4_P12ihipStream_tbEUlT_E1_NS1_11comp_targetILNS1_3genE5ELNS1_11target_archE942ELNS1_3gpuE9ELNS1_3repE0EEENS1_30default_config_static_selectorELNS0_4arch9wavefront6targetE0EEEvSM_.has_recursion, 0
	.set _ZN7rocprim17ROCPRIM_400000_NS6detail17trampoline_kernelINS0_14default_configENS1_22reduce_config_selectorIfEEZNS1_11reduce_implILb1ES3_N6thrust23THRUST_200600_302600_NS11hip_rocprim26transform_input_iterator_tIfNS8_17counting_iteratorIiNS8_11use_defaultESC_SC_EE11estimate_piEEPffNS8_4plusIfEEEE10hipError_tPvRmT1_T2_T3_mT4_P12ihipStream_tbEUlT_E1_NS1_11comp_targetILNS1_3genE5ELNS1_11target_archE942ELNS1_3gpuE9ELNS1_3repE0EEENS1_30default_config_static_selectorELNS0_4arch9wavefront6targetE0EEEvSM_.has_indirect_call, 0
	.section	.AMDGPU.csdata,"",@progbits
; Kernel info:
; codeLenInByte = 0
; TotalNumSgprs: 0
; NumVgprs: 0
; ScratchSize: 0
; MemoryBound: 0
; FloatMode: 240
; IeeeMode: 1
; LDSByteSize: 0 bytes/workgroup (compile time only)
; SGPRBlocks: 0
; VGPRBlocks: 0
; NumSGPRsForWavesPerEU: 1
; NumVGPRsForWavesPerEU: 1
; NamedBarCnt: 0
; Occupancy: 16
; WaveLimiterHint : 0
; COMPUTE_PGM_RSRC2:SCRATCH_EN: 0
; COMPUTE_PGM_RSRC2:USER_SGPR: 2
; COMPUTE_PGM_RSRC2:TRAP_HANDLER: 0
; COMPUTE_PGM_RSRC2:TGID_X_EN: 1
; COMPUTE_PGM_RSRC2:TGID_Y_EN: 0
; COMPUTE_PGM_RSRC2:TGID_Z_EN: 0
; COMPUTE_PGM_RSRC2:TIDIG_COMP_CNT: 0
	.section	.text._ZN7rocprim17ROCPRIM_400000_NS6detail17trampoline_kernelINS0_14default_configENS1_22reduce_config_selectorIfEEZNS1_11reduce_implILb1ES3_N6thrust23THRUST_200600_302600_NS11hip_rocprim26transform_input_iterator_tIfNS8_17counting_iteratorIiNS8_11use_defaultESC_SC_EE11estimate_piEEPffNS8_4plusIfEEEE10hipError_tPvRmT1_T2_T3_mT4_P12ihipStream_tbEUlT_E1_NS1_11comp_targetILNS1_3genE4ELNS1_11target_archE910ELNS1_3gpuE8ELNS1_3repE0EEENS1_30default_config_static_selectorELNS0_4arch9wavefront6targetE0EEEvSM_,"axG",@progbits,_ZN7rocprim17ROCPRIM_400000_NS6detail17trampoline_kernelINS0_14default_configENS1_22reduce_config_selectorIfEEZNS1_11reduce_implILb1ES3_N6thrust23THRUST_200600_302600_NS11hip_rocprim26transform_input_iterator_tIfNS8_17counting_iteratorIiNS8_11use_defaultESC_SC_EE11estimate_piEEPffNS8_4plusIfEEEE10hipError_tPvRmT1_T2_T3_mT4_P12ihipStream_tbEUlT_E1_NS1_11comp_targetILNS1_3genE4ELNS1_11target_archE910ELNS1_3gpuE8ELNS1_3repE0EEENS1_30default_config_static_selectorELNS0_4arch9wavefront6targetE0EEEvSM_,comdat
	.protected	_ZN7rocprim17ROCPRIM_400000_NS6detail17trampoline_kernelINS0_14default_configENS1_22reduce_config_selectorIfEEZNS1_11reduce_implILb1ES3_N6thrust23THRUST_200600_302600_NS11hip_rocprim26transform_input_iterator_tIfNS8_17counting_iteratorIiNS8_11use_defaultESC_SC_EE11estimate_piEEPffNS8_4plusIfEEEE10hipError_tPvRmT1_T2_T3_mT4_P12ihipStream_tbEUlT_E1_NS1_11comp_targetILNS1_3genE4ELNS1_11target_archE910ELNS1_3gpuE8ELNS1_3repE0EEENS1_30default_config_static_selectorELNS0_4arch9wavefront6targetE0EEEvSM_ ; -- Begin function _ZN7rocprim17ROCPRIM_400000_NS6detail17trampoline_kernelINS0_14default_configENS1_22reduce_config_selectorIfEEZNS1_11reduce_implILb1ES3_N6thrust23THRUST_200600_302600_NS11hip_rocprim26transform_input_iterator_tIfNS8_17counting_iteratorIiNS8_11use_defaultESC_SC_EE11estimate_piEEPffNS8_4plusIfEEEE10hipError_tPvRmT1_T2_T3_mT4_P12ihipStream_tbEUlT_E1_NS1_11comp_targetILNS1_3genE4ELNS1_11target_archE910ELNS1_3gpuE8ELNS1_3repE0EEENS1_30default_config_static_selectorELNS0_4arch9wavefront6targetE0EEEvSM_
	.globl	_ZN7rocprim17ROCPRIM_400000_NS6detail17trampoline_kernelINS0_14default_configENS1_22reduce_config_selectorIfEEZNS1_11reduce_implILb1ES3_N6thrust23THRUST_200600_302600_NS11hip_rocprim26transform_input_iterator_tIfNS8_17counting_iteratorIiNS8_11use_defaultESC_SC_EE11estimate_piEEPffNS8_4plusIfEEEE10hipError_tPvRmT1_T2_T3_mT4_P12ihipStream_tbEUlT_E1_NS1_11comp_targetILNS1_3genE4ELNS1_11target_archE910ELNS1_3gpuE8ELNS1_3repE0EEENS1_30default_config_static_selectorELNS0_4arch9wavefront6targetE0EEEvSM_
	.p2align	8
	.type	_ZN7rocprim17ROCPRIM_400000_NS6detail17trampoline_kernelINS0_14default_configENS1_22reduce_config_selectorIfEEZNS1_11reduce_implILb1ES3_N6thrust23THRUST_200600_302600_NS11hip_rocprim26transform_input_iterator_tIfNS8_17counting_iteratorIiNS8_11use_defaultESC_SC_EE11estimate_piEEPffNS8_4plusIfEEEE10hipError_tPvRmT1_T2_T3_mT4_P12ihipStream_tbEUlT_E1_NS1_11comp_targetILNS1_3genE4ELNS1_11target_archE910ELNS1_3gpuE8ELNS1_3repE0EEENS1_30default_config_static_selectorELNS0_4arch9wavefront6targetE0EEEvSM_,@function
_ZN7rocprim17ROCPRIM_400000_NS6detail17trampoline_kernelINS0_14default_configENS1_22reduce_config_selectorIfEEZNS1_11reduce_implILb1ES3_N6thrust23THRUST_200600_302600_NS11hip_rocprim26transform_input_iterator_tIfNS8_17counting_iteratorIiNS8_11use_defaultESC_SC_EE11estimate_piEEPffNS8_4plusIfEEEE10hipError_tPvRmT1_T2_T3_mT4_P12ihipStream_tbEUlT_E1_NS1_11comp_targetILNS1_3genE4ELNS1_11target_archE910ELNS1_3gpuE8ELNS1_3repE0EEENS1_30default_config_static_selectorELNS0_4arch9wavefront6targetE0EEEvSM_: ; @_ZN7rocprim17ROCPRIM_400000_NS6detail17trampoline_kernelINS0_14default_configENS1_22reduce_config_selectorIfEEZNS1_11reduce_implILb1ES3_N6thrust23THRUST_200600_302600_NS11hip_rocprim26transform_input_iterator_tIfNS8_17counting_iteratorIiNS8_11use_defaultESC_SC_EE11estimate_piEEPffNS8_4plusIfEEEE10hipError_tPvRmT1_T2_T3_mT4_P12ihipStream_tbEUlT_E1_NS1_11comp_targetILNS1_3genE4ELNS1_11target_archE910ELNS1_3gpuE8ELNS1_3repE0EEENS1_30default_config_static_selectorELNS0_4arch9wavefront6targetE0EEEvSM_
; %bb.0:
	.section	.rodata,"a",@progbits
	.p2align	6, 0x0
	.amdhsa_kernel _ZN7rocprim17ROCPRIM_400000_NS6detail17trampoline_kernelINS0_14default_configENS1_22reduce_config_selectorIfEEZNS1_11reduce_implILb1ES3_N6thrust23THRUST_200600_302600_NS11hip_rocprim26transform_input_iterator_tIfNS8_17counting_iteratorIiNS8_11use_defaultESC_SC_EE11estimate_piEEPffNS8_4plusIfEEEE10hipError_tPvRmT1_T2_T3_mT4_P12ihipStream_tbEUlT_E1_NS1_11comp_targetILNS1_3genE4ELNS1_11target_archE910ELNS1_3gpuE8ELNS1_3repE0EEENS1_30default_config_static_selectorELNS0_4arch9wavefront6targetE0EEEvSM_
		.amdhsa_group_segment_fixed_size 0
		.amdhsa_private_segment_fixed_size 0
		.amdhsa_kernarg_size 40
		.amdhsa_user_sgpr_count 2
		.amdhsa_user_sgpr_dispatch_ptr 0
		.amdhsa_user_sgpr_queue_ptr 0
		.amdhsa_user_sgpr_kernarg_segment_ptr 1
		.amdhsa_user_sgpr_dispatch_id 0
		.amdhsa_user_sgpr_kernarg_preload_length 0
		.amdhsa_user_sgpr_kernarg_preload_offset 0
		.amdhsa_user_sgpr_private_segment_size 0
		.amdhsa_wavefront_size32 1
		.amdhsa_uses_dynamic_stack 0
		.amdhsa_enable_private_segment 0
		.amdhsa_system_sgpr_workgroup_id_x 1
		.amdhsa_system_sgpr_workgroup_id_y 0
		.amdhsa_system_sgpr_workgroup_id_z 0
		.amdhsa_system_sgpr_workgroup_info 0
		.amdhsa_system_vgpr_workitem_id 0
		.amdhsa_next_free_vgpr 1
		.amdhsa_next_free_sgpr 1
		.amdhsa_named_barrier_count 0
		.amdhsa_reserve_vcc 0
		.amdhsa_float_round_mode_32 0
		.amdhsa_float_round_mode_16_64 0
		.amdhsa_float_denorm_mode_32 3
		.amdhsa_float_denorm_mode_16_64 3
		.amdhsa_fp16_overflow 0
		.amdhsa_memory_ordered 1
		.amdhsa_forward_progress 1
		.amdhsa_inst_pref_size 0
		.amdhsa_round_robin_scheduling 0
		.amdhsa_exception_fp_ieee_invalid_op 0
		.amdhsa_exception_fp_denorm_src 0
		.amdhsa_exception_fp_ieee_div_zero 0
		.amdhsa_exception_fp_ieee_overflow 0
		.amdhsa_exception_fp_ieee_underflow 0
		.amdhsa_exception_fp_ieee_inexact 0
		.amdhsa_exception_int_div_zero 0
	.end_amdhsa_kernel
	.section	.text._ZN7rocprim17ROCPRIM_400000_NS6detail17trampoline_kernelINS0_14default_configENS1_22reduce_config_selectorIfEEZNS1_11reduce_implILb1ES3_N6thrust23THRUST_200600_302600_NS11hip_rocprim26transform_input_iterator_tIfNS8_17counting_iteratorIiNS8_11use_defaultESC_SC_EE11estimate_piEEPffNS8_4plusIfEEEE10hipError_tPvRmT1_T2_T3_mT4_P12ihipStream_tbEUlT_E1_NS1_11comp_targetILNS1_3genE4ELNS1_11target_archE910ELNS1_3gpuE8ELNS1_3repE0EEENS1_30default_config_static_selectorELNS0_4arch9wavefront6targetE0EEEvSM_,"axG",@progbits,_ZN7rocprim17ROCPRIM_400000_NS6detail17trampoline_kernelINS0_14default_configENS1_22reduce_config_selectorIfEEZNS1_11reduce_implILb1ES3_N6thrust23THRUST_200600_302600_NS11hip_rocprim26transform_input_iterator_tIfNS8_17counting_iteratorIiNS8_11use_defaultESC_SC_EE11estimate_piEEPffNS8_4plusIfEEEE10hipError_tPvRmT1_T2_T3_mT4_P12ihipStream_tbEUlT_E1_NS1_11comp_targetILNS1_3genE4ELNS1_11target_archE910ELNS1_3gpuE8ELNS1_3repE0EEENS1_30default_config_static_selectorELNS0_4arch9wavefront6targetE0EEEvSM_,comdat
.Lfunc_end30:
	.size	_ZN7rocprim17ROCPRIM_400000_NS6detail17trampoline_kernelINS0_14default_configENS1_22reduce_config_selectorIfEEZNS1_11reduce_implILb1ES3_N6thrust23THRUST_200600_302600_NS11hip_rocprim26transform_input_iterator_tIfNS8_17counting_iteratorIiNS8_11use_defaultESC_SC_EE11estimate_piEEPffNS8_4plusIfEEEE10hipError_tPvRmT1_T2_T3_mT4_P12ihipStream_tbEUlT_E1_NS1_11comp_targetILNS1_3genE4ELNS1_11target_archE910ELNS1_3gpuE8ELNS1_3repE0EEENS1_30default_config_static_selectorELNS0_4arch9wavefront6targetE0EEEvSM_, .Lfunc_end30-_ZN7rocprim17ROCPRIM_400000_NS6detail17trampoline_kernelINS0_14default_configENS1_22reduce_config_selectorIfEEZNS1_11reduce_implILb1ES3_N6thrust23THRUST_200600_302600_NS11hip_rocprim26transform_input_iterator_tIfNS8_17counting_iteratorIiNS8_11use_defaultESC_SC_EE11estimate_piEEPffNS8_4plusIfEEEE10hipError_tPvRmT1_T2_T3_mT4_P12ihipStream_tbEUlT_E1_NS1_11comp_targetILNS1_3genE4ELNS1_11target_archE910ELNS1_3gpuE8ELNS1_3repE0EEENS1_30default_config_static_selectorELNS0_4arch9wavefront6targetE0EEEvSM_
                                        ; -- End function
	.set _ZN7rocprim17ROCPRIM_400000_NS6detail17trampoline_kernelINS0_14default_configENS1_22reduce_config_selectorIfEEZNS1_11reduce_implILb1ES3_N6thrust23THRUST_200600_302600_NS11hip_rocprim26transform_input_iterator_tIfNS8_17counting_iteratorIiNS8_11use_defaultESC_SC_EE11estimate_piEEPffNS8_4plusIfEEEE10hipError_tPvRmT1_T2_T3_mT4_P12ihipStream_tbEUlT_E1_NS1_11comp_targetILNS1_3genE4ELNS1_11target_archE910ELNS1_3gpuE8ELNS1_3repE0EEENS1_30default_config_static_selectorELNS0_4arch9wavefront6targetE0EEEvSM_.num_vgpr, 0
	.set _ZN7rocprim17ROCPRIM_400000_NS6detail17trampoline_kernelINS0_14default_configENS1_22reduce_config_selectorIfEEZNS1_11reduce_implILb1ES3_N6thrust23THRUST_200600_302600_NS11hip_rocprim26transform_input_iterator_tIfNS8_17counting_iteratorIiNS8_11use_defaultESC_SC_EE11estimate_piEEPffNS8_4plusIfEEEE10hipError_tPvRmT1_T2_T3_mT4_P12ihipStream_tbEUlT_E1_NS1_11comp_targetILNS1_3genE4ELNS1_11target_archE910ELNS1_3gpuE8ELNS1_3repE0EEENS1_30default_config_static_selectorELNS0_4arch9wavefront6targetE0EEEvSM_.num_agpr, 0
	.set _ZN7rocprim17ROCPRIM_400000_NS6detail17trampoline_kernelINS0_14default_configENS1_22reduce_config_selectorIfEEZNS1_11reduce_implILb1ES3_N6thrust23THRUST_200600_302600_NS11hip_rocprim26transform_input_iterator_tIfNS8_17counting_iteratorIiNS8_11use_defaultESC_SC_EE11estimate_piEEPffNS8_4plusIfEEEE10hipError_tPvRmT1_T2_T3_mT4_P12ihipStream_tbEUlT_E1_NS1_11comp_targetILNS1_3genE4ELNS1_11target_archE910ELNS1_3gpuE8ELNS1_3repE0EEENS1_30default_config_static_selectorELNS0_4arch9wavefront6targetE0EEEvSM_.numbered_sgpr, 0
	.set _ZN7rocprim17ROCPRIM_400000_NS6detail17trampoline_kernelINS0_14default_configENS1_22reduce_config_selectorIfEEZNS1_11reduce_implILb1ES3_N6thrust23THRUST_200600_302600_NS11hip_rocprim26transform_input_iterator_tIfNS8_17counting_iteratorIiNS8_11use_defaultESC_SC_EE11estimate_piEEPffNS8_4plusIfEEEE10hipError_tPvRmT1_T2_T3_mT4_P12ihipStream_tbEUlT_E1_NS1_11comp_targetILNS1_3genE4ELNS1_11target_archE910ELNS1_3gpuE8ELNS1_3repE0EEENS1_30default_config_static_selectorELNS0_4arch9wavefront6targetE0EEEvSM_.num_named_barrier, 0
	.set _ZN7rocprim17ROCPRIM_400000_NS6detail17trampoline_kernelINS0_14default_configENS1_22reduce_config_selectorIfEEZNS1_11reduce_implILb1ES3_N6thrust23THRUST_200600_302600_NS11hip_rocprim26transform_input_iterator_tIfNS8_17counting_iteratorIiNS8_11use_defaultESC_SC_EE11estimate_piEEPffNS8_4plusIfEEEE10hipError_tPvRmT1_T2_T3_mT4_P12ihipStream_tbEUlT_E1_NS1_11comp_targetILNS1_3genE4ELNS1_11target_archE910ELNS1_3gpuE8ELNS1_3repE0EEENS1_30default_config_static_selectorELNS0_4arch9wavefront6targetE0EEEvSM_.private_seg_size, 0
	.set _ZN7rocprim17ROCPRIM_400000_NS6detail17trampoline_kernelINS0_14default_configENS1_22reduce_config_selectorIfEEZNS1_11reduce_implILb1ES3_N6thrust23THRUST_200600_302600_NS11hip_rocprim26transform_input_iterator_tIfNS8_17counting_iteratorIiNS8_11use_defaultESC_SC_EE11estimate_piEEPffNS8_4plusIfEEEE10hipError_tPvRmT1_T2_T3_mT4_P12ihipStream_tbEUlT_E1_NS1_11comp_targetILNS1_3genE4ELNS1_11target_archE910ELNS1_3gpuE8ELNS1_3repE0EEENS1_30default_config_static_selectorELNS0_4arch9wavefront6targetE0EEEvSM_.uses_vcc, 0
	.set _ZN7rocprim17ROCPRIM_400000_NS6detail17trampoline_kernelINS0_14default_configENS1_22reduce_config_selectorIfEEZNS1_11reduce_implILb1ES3_N6thrust23THRUST_200600_302600_NS11hip_rocprim26transform_input_iterator_tIfNS8_17counting_iteratorIiNS8_11use_defaultESC_SC_EE11estimate_piEEPffNS8_4plusIfEEEE10hipError_tPvRmT1_T2_T3_mT4_P12ihipStream_tbEUlT_E1_NS1_11comp_targetILNS1_3genE4ELNS1_11target_archE910ELNS1_3gpuE8ELNS1_3repE0EEENS1_30default_config_static_selectorELNS0_4arch9wavefront6targetE0EEEvSM_.uses_flat_scratch, 0
	.set _ZN7rocprim17ROCPRIM_400000_NS6detail17trampoline_kernelINS0_14default_configENS1_22reduce_config_selectorIfEEZNS1_11reduce_implILb1ES3_N6thrust23THRUST_200600_302600_NS11hip_rocprim26transform_input_iterator_tIfNS8_17counting_iteratorIiNS8_11use_defaultESC_SC_EE11estimate_piEEPffNS8_4plusIfEEEE10hipError_tPvRmT1_T2_T3_mT4_P12ihipStream_tbEUlT_E1_NS1_11comp_targetILNS1_3genE4ELNS1_11target_archE910ELNS1_3gpuE8ELNS1_3repE0EEENS1_30default_config_static_selectorELNS0_4arch9wavefront6targetE0EEEvSM_.has_dyn_sized_stack, 0
	.set _ZN7rocprim17ROCPRIM_400000_NS6detail17trampoline_kernelINS0_14default_configENS1_22reduce_config_selectorIfEEZNS1_11reduce_implILb1ES3_N6thrust23THRUST_200600_302600_NS11hip_rocprim26transform_input_iterator_tIfNS8_17counting_iteratorIiNS8_11use_defaultESC_SC_EE11estimate_piEEPffNS8_4plusIfEEEE10hipError_tPvRmT1_T2_T3_mT4_P12ihipStream_tbEUlT_E1_NS1_11comp_targetILNS1_3genE4ELNS1_11target_archE910ELNS1_3gpuE8ELNS1_3repE0EEENS1_30default_config_static_selectorELNS0_4arch9wavefront6targetE0EEEvSM_.has_recursion, 0
	.set _ZN7rocprim17ROCPRIM_400000_NS6detail17trampoline_kernelINS0_14default_configENS1_22reduce_config_selectorIfEEZNS1_11reduce_implILb1ES3_N6thrust23THRUST_200600_302600_NS11hip_rocprim26transform_input_iterator_tIfNS8_17counting_iteratorIiNS8_11use_defaultESC_SC_EE11estimate_piEEPffNS8_4plusIfEEEE10hipError_tPvRmT1_T2_T3_mT4_P12ihipStream_tbEUlT_E1_NS1_11comp_targetILNS1_3genE4ELNS1_11target_archE910ELNS1_3gpuE8ELNS1_3repE0EEENS1_30default_config_static_selectorELNS0_4arch9wavefront6targetE0EEEvSM_.has_indirect_call, 0
	.section	.AMDGPU.csdata,"",@progbits
; Kernel info:
; codeLenInByte = 0
; TotalNumSgprs: 0
; NumVgprs: 0
; ScratchSize: 0
; MemoryBound: 0
; FloatMode: 240
; IeeeMode: 1
; LDSByteSize: 0 bytes/workgroup (compile time only)
; SGPRBlocks: 0
; VGPRBlocks: 0
; NumSGPRsForWavesPerEU: 1
; NumVGPRsForWavesPerEU: 1
; NamedBarCnt: 0
; Occupancy: 16
; WaveLimiterHint : 0
; COMPUTE_PGM_RSRC2:SCRATCH_EN: 0
; COMPUTE_PGM_RSRC2:USER_SGPR: 2
; COMPUTE_PGM_RSRC2:TRAP_HANDLER: 0
; COMPUTE_PGM_RSRC2:TGID_X_EN: 1
; COMPUTE_PGM_RSRC2:TGID_Y_EN: 0
; COMPUTE_PGM_RSRC2:TGID_Z_EN: 0
; COMPUTE_PGM_RSRC2:TIDIG_COMP_CNT: 0
	.section	.text._ZN7rocprim17ROCPRIM_400000_NS6detail17trampoline_kernelINS0_14default_configENS1_22reduce_config_selectorIfEEZNS1_11reduce_implILb1ES3_N6thrust23THRUST_200600_302600_NS11hip_rocprim26transform_input_iterator_tIfNS8_17counting_iteratorIiNS8_11use_defaultESC_SC_EE11estimate_piEEPffNS8_4plusIfEEEE10hipError_tPvRmT1_T2_T3_mT4_P12ihipStream_tbEUlT_E1_NS1_11comp_targetILNS1_3genE3ELNS1_11target_archE908ELNS1_3gpuE7ELNS1_3repE0EEENS1_30default_config_static_selectorELNS0_4arch9wavefront6targetE0EEEvSM_,"axG",@progbits,_ZN7rocprim17ROCPRIM_400000_NS6detail17trampoline_kernelINS0_14default_configENS1_22reduce_config_selectorIfEEZNS1_11reduce_implILb1ES3_N6thrust23THRUST_200600_302600_NS11hip_rocprim26transform_input_iterator_tIfNS8_17counting_iteratorIiNS8_11use_defaultESC_SC_EE11estimate_piEEPffNS8_4plusIfEEEE10hipError_tPvRmT1_T2_T3_mT4_P12ihipStream_tbEUlT_E1_NS1_11comp_targetILNS1_3genE3ELNS1_11target_archE908ELNS1_3gpuE7ELNS1_3repE0EEENS1_30default_config_static_selectorELNS0_4arch9wavefront6targetE0EEEvSM_,comdat
	.protected	_ZN7rocprim17ROCPRIM_400000_NS6detail17trampoline_kernelINS0_14default_configENS1_22reduce_config_selectorIfEEZNS1_11reduce_implILb1ES3_N6thrust23THRUST_200600_302600_NS11hip_rocprim26transform_input_iterator_tIfNS8_17counting_iteratorIiNS8_11use_defaultESC_SC_EE11estimate_piEEPffNS8_4plusIfEEEE10hipError_tPvRmT1_T2_T3_mT4_P12ihipStream_tbEUlT_E1_NS1_11comp_targetILNS1_3genE3ELNS1_11target_archE908ELNS1_3gpuE7ELNS1_3repE0EEENS1_30default_config_static_selectorELNS0_4arch9wavefront6targetE0EEEvSM_ ; -- Begin function _ZN7rocprim17ROCPRIM_400000_NS6detail17trampoline_kernelINS0_14default_configENS1_22reduce_config_selectorIfEEZNS1_11reduce_implILb1ES3_N6thrust23THRUST_200600_302600_NS11hip_rocprim26transform_input_iterator_tIfNS8_17counting_iteratorIiNS8_11use_defaultESC_SC_EE11estimate_piEEPffNS8_4plusIfEEEE10hipError_tPvRmT1_T2_T3_mT4_P12ihipStream_tbEUlT_E1_NS1_11comp_targetILNS1_3genE3ELNS1_11target_archE908ELNS1_3gpuE7ELNS1_3repE0EEENS1_30default_config_static_selectorELNS0_4arch9wavefront6targetE0EEEvSM_
	.globl	_ZN7rocprim17ROCPRIM_400000_NS6detail17trampoline_kernelINS0_14default_configENS1_22reduce_config_selectorIfEEZNS1_11reduce_implILb1ES3_N6thrust23THRUST_200600_302600_NS11hip_rocprim26transform_input_iterator_tIfNS8_17counting_iteratorIiNS8_11use_defaultESC_SC_EE11estimate_piEEPffNS8_4plusIfEEEE10hipError_tPvRmT1_T2_T3_mT4_P12ihipStream_tbEUlT_E1_NS1_11comp_targetILNS1_3genE3ELNS1_11target_archE908ELNS1_3gpuE7ELNS1_3repE0EEENS1_30default_config_static_selectorELNS0_4arch9wavefront6targetE0EEEvSM_
	.p2align	8
	.type	_ZN7rocprim17ROCPRIM_400000_NS6detail17trampoline_kernelINS0_14default_configENS1_22reduce_config_selectorIfEEZNS1_11reduce_implILb1ES3_N6thrust23THRUST_200600_302600_NS11hip_rocprim26transform_input_iterator_tIfNS8_17counting_iteratorIiNS8_11use_defaultESC_SC_EE11estimate_piEEPffNS8_4plusIfEEEE10hipError_tPvRmT1_T2_T3_mT4_P12ihipStream_tbEUlT_E1_NS1_11comp_targetILNS1_3genE3ELNS1_11target_archE908ELNS1_3gpuE7ELNS1_3repE0EEENS1_30default_config_static_selectorELNS0_4arch9wavefront6targetE0EEEvSM_,@function
_ZN7rocprim17ROCPRIM_400000_NS6detail17trampoline_kernelINS0_14default_configENS1_22reduce_config_selectorIfEEZNS1_11reduce_implILb1ES3_N6thrust23THRUST_200600_302600_NS11hip_rocprim26transform_input_iterator_tIfNS8_17counting_iteratorIiNS8_11use_defaultESC_SC_EE11estimate_piEEPffNS8_4plusIfEEEE10hipError_tPvRmT1_T2_T3_mT4_P12ihipStream_tbEUlT_E1_NS1_11comp_targetILNS1_3genE3ELNS1_11target_archE908ELNS1_3gpuE7ELNS1_3repE0EEENS1_30default_config_static_selectorELNS0_4arch9wavefront6targetE0EEEvSM_: ; @_ZN7rocprim17ROCPRIM_400000_NS6detail17trampoline_kernelINS0_14default_configENS1_22reduce_config_selectorIfEEZNS1_11reduce_implILb1ES3_N6thrust23THRUST_200600_302600_NS11hip_rocprim26transform_input_iterator_tIfNS8_17counting_iteratorIiNS8_11use_defaultESC_SC_EE11estimate_piEEPffNS8_4plusIfEEEE10hipError_tPvRmT1_T2_T3_mT4_P12ihipStream_tbEUlT_E1_NS1_11comp_targetILNS1_3genE3ELNS1_11target_archE908ELNS1_3gpuE7ELNS1_3repE0EEENS1_30default_config_static_selectorELNS0_4arch9wavefront6targetE0EEEvSM_
; %bb.0:
	.section	.rodata,"a",@progbits
	.p2align	6, 0x0
	.amdhsa_kernel _ZN7rocprim17ROCPRIM_400000_NS6detail17trampoline_kernelINS0_14default_configENS1_22reduce_config_selectorIfEEZNS1_11reduce_implILb1ES3_N6thrust23THRUST_200600_302600_NS11hip_rocprim26transform_input_iterator_tIfNS8_17counting_iteratorIiNS8_11use_defaultESC_SC_EE11estimate_piEEPffNS8_4plusIfEEEE10hipError_tPvRmT1_T2_T3_mT4_P12ihipStream_tbEUlT_E1_NS1_11comp_targetILNS1_3genE3ELNS1_11target_archE908ELNS1_3gpuE7ELNS1_3repE0EEENS1_30default_config_static_selectorELNS0_4arch9wavefront6targetE0EEEvSM_
		.amdhsa_group_segment_fixed_size 0
		.amdhsa_private_segment_fixed_size 0
		.amdhsa_kernarg_size 40
		.amdhsa_user_sgpr_count 2
		.amdhsa_user_sgpr_dispatch_ptr 0
		.amdhsa_user_sgpr_queue_ptr 0
		.amdhsa_user_sgpr_kernarg_segment_ptr 1
		.amdhsa_user_sgpr_dispatch_id 0
		.amdhsa_user_sgpr_kernarg_preload_length 0
		.amdhsa_user_sgpr_kernarg_preload_offset 0
		.amdhsa_user_sgpr_private_segment_size 0
		.amdhsa_wavefront_size32 1
		.amdhsa_uses_dynamic_stack 0
		.amdhsa_enable_private_segment 0
		.amdhsa_system_sgpr_workgroup_id_x 1
		.amdhsa_system_sgpr_workgroup_id_y 0
		.amdhsa_system_sgpr_workgroup_id_z 0
		.amdhsa_system_sgpr_workgroup_info 0
		.amdhsa_system_vgpr_workitem_id 0
		.amdhsa_next_free_vgpr 1
		.amdhsa_next_free_sgpr 1
		.amdhsa_named_barrier_count 0
		.amdhsa_reserve_vcc 0
		.amdhsa_float_round_mode_32 0
		.amdhsa_float_round_mode_16_64 0
		.amdhsa_float_denorm_mode_32 3
		.amdhsa_float_denorm_mode_16_64 3
		.amdhsa_fp16_overflow 0
		.amdhsa_memory_ordered 1
		.amdhsa_forward_progress 1
		.amdhsa_inst_pref_size 0
		.amdhsa_round_robin_scheduling 0
		.amdhsa_exception_fp_ieee_invalid_op 0
		.amdhsa_exception_fp_denorm_src 0
		.amdhsa_exception_fp_ieee_div_zero 0
		.amdhsa_exception_fp_ieee_overflow 0
		.amdhsa_exception_fp_ieee_underflow 0
		.amdhsa_exception_fp_ieee_inexact 0
		.amdhsa_exception_int_div_zero 0
	.end_amdhsa_kernel
	.section	.text._ZN7rocprim17ROCPRIM_400000_NS6detail17trampoline_kernelINS0_14default_configENS1_22reduce_config_selectorIfEEZNS1_11reduce_implILb1ES3_N6thrust23THRUST_200600_302600_NS11hip_rocprim26transform_input_iterator_tIfNS8_17counting_iteratorIiNS8_11use_defaultESC_SC_EE11estimate_piEEPffNS8_4plusIfEEEE10hipError_tPvRmT1_T2_T3_mT4_P12ihipStream_tbEUlT_E1_NS1_11comp_targetILNS1_3genE3ELNS1_11target_archE908ELNS1_3gpuE7ELNS1_3repE0EEENS1_30default_config_static_selectorELNS0_4arch9wavefront6targetE0EEEvSM_,"axG",@progbits,_ZN7rocprim17ROCPRIM_400000_NS6detail17trampoline_kernelINS0_14default_configENS1_22reduce_config_selectorIfEEZNS1_11reduce_implILb1ES3_N6thrust23THRUST_200600_302600_NS11hip_rocprim26transform_input_iterator_tIfNS8_17counting_iteratorIiNS8_11use_defaultESC_SC_EE11estimate_piEEPffNS8_4plusIfEEEE10hipError_tPvRmT1_T2_T3_mT4_P12ihipStream_tbEUlT_E1_NS1_11comp_targetILNS1_3genE3ELNS1_11target_archE908ELNS1_3gpuE7ELNS1_3repE0EEENS1_30default_config_static_selectorELNS0_4arch9wavefront6targetE0EEEvSM_,comdat
.Lfunc_end31:
	.size	_ZN7rocprim17ROCPRIM_400000_NS6detail17trampoline_kernelINS0_14default_configENS1_22reduce_config_selectorIfEEZNS1_11reduce_implILb1ES3_N6thrust23THRUST_200600_302600_NS11hip_rocprim26transform_input_iterator_tIfNS8_17counting_iteratorIiNS8_11use_defaultESC_SC_EE11estimate_piEEPffNS8_4plusIfEEEE10hipError_tPvRmT1_T2_T3_mT4_P12ihipStream_tbEUlT_E1_NS1_11comp_targetILNS1_3genE3ELNS1_11target_archE908ELNS1_3gpuE7ELNS1_3repE0EEENS1_30default_config_static_selectorELNS0_4arch9wavefront6targetE0EEEvSM_, .Lfunc_end31-_ZN7rocprim17ROCPRIM_400000_NS6detail17trampoline_kernelINS0_14default_configENS1_22reduce_config_selectorIfEEZNS1_11reduce_implILb1ES3_N6thrust23THRUST_200600_302600_NS11hip_rocprim26transform_input_iterator_tIfNS8_17counting_iteratorIiNS8_11use_defaultESC_SC_EE11estimate_piEEPffNS8_4plusIfEEEE10hipError_tPvRmT1_T2_T3_mT4_P12ihipStream_tbEUlT_E1_NS1_11comp_targetILNS1_3genE3ELNS1_11target_archE908ELNS1_3gpuE7ELNS1_3repE0EEENS1_30default_config_static_selectorELNS0_4arch9wavefront6targetE0EEEvSM_
                                        ; -- End function
	.set _ZN7rocprim17ROCPRIM_400000_NS6detail17trampoline_kernelINS0_14default_configENS1_22reduce_config_selectorIfEEZNS1_11reduce_implILb1ES3_N6thrust23THRUST_200600_302600_NS11hip_rocprim26transform_input_iterator_tIfNS8_17counting_iteratorIiNS8_11use_defaultESC_SC_EE11estimate_piEEPffNS8_4plusIfEEEE10hipError_tPvRmT1_T2_T3_mT4_P12ihipStream_tbEUlT_E1_NS1_11comp_targetILNS1_3genE3ELNS1_11target_archE908ELNS1_3gpuE7ELNS1_3repE0EEENS1_30default_config_static_selectorELNS0_4arch9wavefront6targetE0EEEvSM_.num_vgpr, 0
	.set _ZN7rocprim17ROCPRIM_400000_NS6detail17trampoline_kernelINS0_14default_configENS1_22reduce_config_selectorIfEEZNS1_11reduce_implILb1ES3_N6thrust23THRUST_200600_302600_NS11hip_rocprim26transform_input_iterator_tIfNS8_17counting_iteratorIiNS8_11use_defaultESC_SC_EE11estimate_piEEPffNS8_4plusIfEEEE10hipError_tPvRmT1_T2_T3_mT4_P12ihipStream_tbEUlT_E1_NS1_11comp_targetILNS1_3genE3ELNS1_11target_archE908ELNS1_3gpuE7ELNS1_3repE0EEENS1_30default_config_static_selectorELNS0_4arch9wavefront6targetE0EEEvSM_.num_agpr, 0
	.set _ZN7rocprim17ROCPRIM_400000_NS6detail17trampoline_kernelINS0_14default_configENS1_22reduce_config_selectorIfEEZNS1_11reduce_implILb1ES3_N6thrust23THRUST_200600_302600_NS11hip_rocprim26transform_input_iterator_tIfNS8_17counting_iteratorIiNS8_11use_defaultESC_SC_EE11estimate_piEEPffNS8_4plusIfEEEE10hipError_tPvRmT1_T2_T3_mT4_P12ihipStream_tbEUlT_E1_NS1_11comp_targetILNS1_3genE3ELNS1_11target_archE908ELNS1_3gpuE7ELNS1_3repE0EEENS1_30default_config_static_selectorELNS0_4arch9wavefront6targetE0EEEvSM_.numbered_sgpr, 0
	.set _ZN7rocprim17ROCPRIM_400000_NS6detail17trampoline_kernelINS0_14default_configENS1_22reduce_config_selectorIfEEZNS1_11reduce_implILb1ES3_N6thrust23THRUST_200600_302600_NS11hip_rocprim26transform_input_iterator_tIfNS8_17counting_iteratorIiNS8_11use_defaultESC_SC_EE11estimate_piEEPffNS8_4plusIfEEEE10hipError_tPvRmT1_T2_T3_mT4_P12ihipStream_tbEUlT_E1_NS1_11comp_targetILNS1_3genE3ELNS1_11target_archE908ELNS1_3gpuE7ELNS1_3repE0EEENS1_30default_config_static_selectorELNS0_4arch9wavefront6targetE0EEEvSM_.num_named_barrier, 0
	.set _ZN7rocprim17ROCPRIM_400000_NS6detail17trampoline_kernelINS0_14default_configENS1_22reduce_config_selectorIfEEZNS1_11reduce_implILb1ES3_N6thrust23THRUST_200600_302600_NS11hip_rocprim26transform_input_iterator_tIfNS8_17counting_iteratorIiNS8_11use_defaultESC_SC_EE11estimate_piEEPffNS8_4plusIfEEEE10hipError_tPvRmT1_T2_T3_mT4_P12ihipStream_tbEUlT_E1_NS1_11comp_targetILNS1_3genE3ELNS1_11target_archE908ELNS1_3gpuE7ELNS1_3repE0EEENS1_30default_config_static_selectorELNS0_4arch9wavefront6targetE0EEEvSM_.private_seg_size, 0
	.set _ZN7rocprim17ROCPRIM_400000_NS6detail17trampoline_kernelINS0_14default_configENS1_22reduce_config_selectorIfEEZNS1_11reduce_implILb1ES3_N6thrust23THRUST_200600_302600_NS11hip_rocprim26transform_input_iterator_tIfNS8_17counting_iteratorIiNS8_11use_defaultESC_SC_EE11estimate_piEEPffNS8_4plusIfEEEE10hipError_tPvRmT1_T2_T3_mT4_P12ihipStream_tbEUlT_E1_NS1_11comp_targetILNS1_3genE3ELNS1_11target_archE908ELNS1_3gpuE7ELNS1_3repE0EEENS1_30default_config_static_selectorELNS0_4arch9wavefront6targetE0EEEvSM_.uses_vcc, 0
	.set _ZN7rocprim17ROCPRIM_400000_NS6detail17trampoline_kernelINS0_14default_configENS1_22reduce_config_selectorIfEEZNS1_11reduce_implILb1ES3_N6thrust23THRUST_200600_302600_NS11hip_rocprim26transform_input_iterator_tIfNS8_17counting_iteratorIiNS8_11use_defaultESC_SC_EE11estimate_piEEPffNS8_4plusIfEEEE10hipError_tPvRmT1_T2_T3_mT4_P12ihipStream_tbEUlT_E1_NS1_11comp_targetILNS1_3genE3ELNS1_11target_archE908ELNS1_3gpuE7ELNS1_3repE0EEENS1_30default_config_static_selectorELNS0_4arch9wavefront6targetE0EEEvSM_.uses_flat_scratch, 0
	.set _ZN7rocprim17ROCPRIM_400000_NS6detail17trampoline_kernelINS0_14default_configENS1_22reduce_config_selectorIfEEZNS1_11reduce_implILb1ES3_N6thrust23THRUST_200600_302600_NS11hip_rocprim26transform_input_iterator_tIfNS8_17counting_iteratorIiNS8_11use_defaultESC_SC_EE11estimate_piEEPffNS8_4plusIfEEEE10hipError_tPvRmT1_T2_T3_mT4_P12ihipStream_tbEUlT_E1_NS1_11comp_targetILNS1_3genE3ELNS1_11target_archE908ELNS1_3gpuE7ELNS1_3repE0EEENS1_30default_config_static_selectorELNS0_4arch9wavefront6targetE0EEEvSM_.has_dyn_sized_stack, 0
	.set _ZN7rocprim17ROCPRIM_400000_NS6detail17trampoline_kernelINS0_14default_configENS1_22reduce_config_selectorIfEEZNS1_11reduce_implILb1ES3_N6thrust23THRUST_200600_302600_NS11hip_rocprim26transform_input_iterator_tIfNS8_17counting_iteratorIiNS8_11use_defaultESC_SC_EE11estimate_piEEPffNS8_4plusIfEEEE10hipError_tPvRmT1_T2_T3_mT4_P12ihipStream_tbEUlT_E1_NS1_11comp_targetILNS1_3genE3ELNS1_11target_archE908ELNS1_3gpuE7ELNS1_3repE0EEENS1_30default_config_static_selectorELNS0_4arch9wavefront6targetE0EEEvSM_.has_recursion, 0
	.set _ZN7rocprim17ROCPRIM_400000_NS6detail17trampoline_kernelINS0_14default_configENS1_22reduce_config_selectorIfEEZNS1_11reduce_implILb1ES3_N6thrust23THRUST_200600_302600_NS11hip_rocprim26transform_input_iterator_tIfNS8_17counting_iteratorIiNS8_11use_defaultESC_SC_EE11estimate_piEEPffNS8_4plusIfEEEE10hipError_tPvRmT1_T2_T3_mT4_P12ihipStream_tbEUlT_E1_NS1_11comp_targetILNS1_3genE3ELNS1_11target_archE908ELNS1_3gpuE7ELNS1_3repE0EEENS1_30default_config_static_selectorELNS0_4arch9wavefront6targetE0EEEvSM_.has_indirect_call, 0
	.section	.AMDGPU.csdata,"",@progbits
; Kernel info:
; codeLenInByte = 0
; TotalNumSgprs: 0
; NumVgprs: 0
; ScratchSize: 0
; MemoryBound: 0
; FloatMode: 240
; IeeeMode: 1
; LDSByteSize: 0 bytes/workgroup (compile time only)
; SGPRBlocks: 0
; VGPRBlocks: 0
; NumSGPRsForWavesPerEU: 1
; NumVGPRsForWavesPerEU: 1
; NamedBarCnt: 0
; Occupancy: 16
; WaveLimiterHint : 0
; COMPUTE_PGM_RSRC2:SCRATCH_EN: 0
; COMPUTE_PGM_RSRC2:USER_SGPR: 2
; COMPUTE_PGM_RSRC2:TRAP_HANDLER: 0
; COMPUTE_PGM_RSRC2:TGID_X_EN: 1
; COMPUTE_PGM_RSRC2:TGID_Y_EN: 0
; COMPUTE_PGM_RSRC2:TGID_Z_EN: 0
; COMPUTE_PGM_RSRC2:TIDIG_COMP_CNT: 0
	.section	.text._ZN7rocprim17ROCPRIM_400000_NS6detail17trampoline_kernelINS0_14default_configENS1_22reduce_config_selectorIfEEZNS1_11reduce_implILb1ES3_N6thrust23THRUST_200600_302600_NS11hip_rocprim26transform_input_iterator_tIfNS8_17counting_iteratorIiNS8_11use_defaultESC_SC_EE11estimate_piEEPffNS8_4plusIfEEEE10hipError_tPvRmT1_T2_T3_mT4_P12ihipStream_tbEUlT_E1_NS1_11comp_targetILNS1_3genE2ELNS1_11target_archE906ELNS1_3gpuE6ELNS1_3repE0EEENS1_30default_config_static_selectorELNS0_4arch9wavefront6targetE0EEEvSM_,"axG",@progbits,_ZN7rocprim17ROCPRIM_400000_NS6detail17trampoline_kernelINS0_14default_configENS1_22reduce_config_selectorIfEEZNS1_11reduce_implILb1ES3_N6thrust23THRUST_200600_302600_NS11hip_rocprim26transform_input_iterator_tIfNS8_17counting_iteratorIiNS8_11use_defaultESC_SC_EE11estimate_piEEPffNS8_4plusIfEEEE10hipError_tPvRmT1_T2_T3_mT4_P12ihipStream_tbEUlT_E1_NS1_11comp_targetILNS1_3genE2ELNS1_11target_archE906ELNS1_3gpuE6ELNS1_3repE0EEENS1_30default_config_static_selectorELNS0_4arch9wavefront6targetE0EEEvSM_,comdat
	.protected	_ZN7rocprim17ROCPRIM_400000_NS6detail17trampoline_kernelINS0_14default_configENS1_22reduce_config_selectorIfEEZNS1_11reduce_implILb1ES3_N6thrust23THRUST_200600_302600_NS11hip_rocprim26transform_input_iterator_tIfNS8_17counting_iteratorIiNS8_11use_defaultESC_SC_EE11estimate_piEEPffNS8_4plusIfEEEE10hipError_tPvRmT1_T2_T3_mT4_P12ihipStream_tbEUlT_E1_NS1_11comp_targetILNS1_3genE2ELNS1_11target_archE906ELNS1_3gpuE6ELNS1_3repE0EEENS1_30default_config_static_selectorELNS0_4arch9wavefront6targetE0EEEvSM_ ; -- Begin function _ZN7rocprim17ROCPRIM_400000_NS6detail17trampoline_kernelINS0_14default_configENS1_22reduce_config_selectorIfEEZNS1_11reduce_implILb1ES3_N6thrust23THRUST_200600_302600_NS11hip_rocprim26transform_input_iterator_tIfNS8_17counting_iteratorIiNS8_11use_defaultESC_SC_EE11estimate_piEEPffNS8_4plusIfEEEE10hipError_tPvRmT1_T2_T3_mT4_P12ihipStream_tbEUlT_E1_NS1_11comp_targetILNS1_3genE2ELNS1_11target_archE906ELNS1_3gpuE6ELNS1_3repE0EEENS1_30default_config_static_selectorELNS0_4arch9wavefront6targetE0EEEvSM_
	.globl	_ZN7rocprim17ROCPRIM_400000_NS6detail17trampoline_kernelINS0_14default_configENS1_22reduce_config_selectorIfEEZNS1_11reduce_implILb1ES3_N6thrust23THRUST_200600_302600_NS11hip_rocprim26transform_input_iterator_tIfNS8_17counting_iteratorIiNS8_11use_defaultESC_SC_EE11estimate_piEEPffNS8_4plusIfEEEE10hipError_tPvRmT1_T2_T3_mT4_P12ihipStream_tbEUlT_E1_NS1_11comp_targetILNS1_3genE2ELNS1_11target_archE906ELNS1_3gpuE6ELNS1_3repE0EEENS1_30default_config_static_selectorELNS0_4arch9wavefront6targetE0EEEvSM_
	.p2align	8
	.type	_ZN7rocprim17ROCPRIM_400000_NS6detail17trampoline_kernelINS0_14default_configENS1_22reduce_config_selectorIfEEZNS1_11reduce_implILb1ES3_N6thrust23THRUST_200600_302600_NS11hip_rocprim26transform_input_iterator_tIfNS8_17counting_iteratorIiNS8_11use_defaultESC_SC_EE11estimate_piEEPffNS8_4plusIfEEEE10hipError_tPvRmT1_T2_T3_mT4_P12ihipStream_tbEUlT_E1_NS1_11comp_targetILNS1_3genE2ELNS1_11target_archE906ELNS1_3gpuE6ELNS1_3repE0EEENS1_30default_config_static_selectorELNS0_4arch9wavefront6targetE0EEEvSM_,@function
_ZN7rocprim17ROCPRIM_400000_NS6detail17trampoline_kernelINS0_14default_configENS1_22reduce_config_selectorIfEEZNS1_11reduce_implILb1ES3_N6thrust23THRUST_200600_302600_NS11hip_rocprim26transform_input_iterator_tIfNS8_17counting_iteratorIiNS8_11use_defaultESC_SC_EE11estimate_piEEPffNS8_4plusIfEEEE10hipError_tPvRmT1_T2_T3_mT4_P12ihipStream_tbEUlT_E1_NS1_11comp_targetILNS1_3genE2ELNS1_11target_archE906ELNS1_3gpuE6ELNS1_3repE0EEENS1_30default_config_static_selectorELNS0_4arch9wavefront6targetE0EEEvSM_: ; @_ZN7rocprim17ROCPRIM_400000_NS6detail17trampoline_kernelINS0_14default_configENS1_22reduce_config_selectorIfEEZNS1_11reduce_implILb1ES3_N6thrust23THRUST_200600_302600_NS11hip_rocprim26transform_input_iterator_tIfNS8_17counting_iteratorIiNS8_11use_defaultESC_SC_EE11estimate_piEEPffNS8_4plusIfEEEE10hipError_tPvRmT1_T2_T3_mT4_P12ihipStream_tbEUlT_E1_NS1_11comp_targetILNS1_3genE2ELNS1_11target_archE906ELNS1_3gpuE6ELNS1_3repE0EEENS1_30default_config_static_selectorELNS0_4arch9wavefront6targetE0EEEvSM_
; %bb.0:
	.section	.rodata,"a",@progbits
	.p2align	6, 0x0
	.amdhsa_kernel _ZN7rocprim17ROCPRIM_400000_NS6detail17trampoline_kernelINS0_14default_configENS1_22reduce_config_selectorIfEEZNS1_11reduce_implILb1ES3_N6thrust23THRUST_200600_302600_NS11hip_rocprim26transform_input_iterator_tIfNS8_17counting_iteratorIiNS8_11use_defaultESC_SC_EE11estimate_piEEPffNS8_4plusIfEEEE10hipError_tPvRmT1_T2_T3_mT4_P12ihipStream_tbEUlT_E1_NS1_11comp_targetILNS1_3genE2ELNS1_11target_archE906ELNS1_3gpuE6ELNS1_3repE0EEENS1_30default_config_static_selectorELNS0_4arch9wavefront6targetE0EEEvSM_
		.amdhsa_group_segment_fixed_size 0
		.amdhsa_private_segment_fixed_size 0
		.amdhsa_kernarg_size 40
		.amdhsa_user_sgpr_count 2
		.amdhsa_user_sgpr_dispatch_ptr 0
		.amdhsa_user_sgpr_queue_ptr 0
		.amdhsa_user_sgpr_kernarg_segment_ptr 1
		.amdhsa_user_sgpr_dispatch_id 0
		.amdhsa_user_sgpr_kernarg_preload_length 0
		.amdhsa_user_sgpr_kernarg_preload_offset 0
		.amdhsa_user_sgpr_private_segment_size 0
		.amdhsa_wavefront_size32 1
		.amdhsa_uses_dynamic_stack 0
		.amdhsa_enable_private_segment 0
		.amdhsa_system_sgpr_workgroup_id_x 1
		.amdhsa_system_sgpr_workgroup_id_y 0
		.amdhsa_system_sgpr_workgroup_id_z 0
		.amdhsa_system_sgpr_workgroup_info 0
		.amdhsa_system_vgpr_workitem_id 0
		.amdhsa_next_free_vgpr 1
		.amdhsa_next_free_sgpr 1
		.amdhsa_named_barrier_count 0
		.amdhsa_reserve_vcc 0
		.amdhsa_float_round_mode_32 0
		.amdhsa_float_round_mode_16_64 0
		.amdhsa_float_denorm_mode_32 3
		.amdhsa_float_denorm_mode_16_64 3
		.amdhsa_fp16_overflow 0
		.amdhsa_memory_ordered 1
		.amdhsa_forward_progress 1
		.amdhsa_inst_pref_size 0
		.amdhsa_round_robin_scheduling 0
		.amdhsa_exception_fp_ieee_invalid_op 0
		.amdhsa_exception_fp_denorm_src 0
		.amdhsa_exception_fp_ieee_div_zero 0
		.amdhsa_exception_fp_ieee_overflow 0
		.amdhsa_exception_fp_ieee_underflow 0
		.amdhsa_exception_fp_ieee_inexact 0
		.amdhsa_exception_int_div_zero 0
	.end_amdhsa_kernel
	.section	.text._ZN7rocprim17ROCPRIM_400000_NS6detail17trampoline_kernelINS0_14default_configENS1_22reduce_config_selectorIfEEZNS1_11reduce_implILb1ES3_N6thrust23THRUST_200600_302600_NS11hip_rocprim26transform_input_iterator_tIfNS8_17counting_iteratorIiNS8_11use_defaultESC_SC_EE11estimate_piEEPffNS8_4plusIfEEEE10hipError_tPvRmT1_T2_T3_mT4_P12ihipStream_tbEUlT_E1_NS1_11comp_targetILNS1_3genE2ELNS1_11target_archE906ELNS1_3gpuE6ELNS1_3repE0EEENS1_30default_config_static_selectorELNS0_4arch9wavefront6targetE0EEEvSM_,"axG",@progbits,_ZN7rocprim17ROCPRIM_400000_NS6detail17trampoline_kernelINS0_14default_configENS1_22reduce_config_selectorIfEEZNS1_11reduce_implILb1ES3_N6thrust23THRUST_200600_302600_NS11hip_rocprim26transform_input_iterator_tIfNS8_17counting_iteratorIiNS8_11use_defaultESC_SC_EE11estimate_piEEPffNS8_4plusIfEEEE10hipError_tPvRmT1_T2_T3_mT4_P12ihipStream_tbEUlT_E1_NS1_11comp_targetILNS1_3genE2ELNS1_11target_archE906ELNS1_3gpuE6ELNS1_3repE0EEENS1_30default_config_static_selectorELNS0_4arch9wavefront6targetE0EEEvSM_,comdat
.Lfunc_end32:
	.size	_ZN7rocprim17ROCPRIM_400000_NS6detail17trampoline_kernelINS0_14default_configENS1_22reduce_config_selectorIfEEZNS1_11reduce_implILb1ES3_N6thrust23THRUST_200600_302600_NS11hip_rocprim26transform_input_iterator_tIfNS8_17counting_iteratorIiNS8_11use_defaultESC_SC_EE11estimate_piEEPffNS8_4plusIfEEEE10hipError_tPvRmT1_T2_T3_mT4_P12ihipStream_tbEUlT_E1_NS1_11comp_targetILNS1_3genE2ELNS1_11target_archE906ELNS1_3gpuE6ELNS1_3repE0EEENS1_30default_config_static_selectorELNS0_4arch9wavefront6targetE0EEEvSM_, .Lfunc_end32-_ZN7rocprim17ROCPRIM_400000_NS6detail17trampoline_kernelINS0_14default_configENS1_22reduce_config_selectorIfEEZNS1_11reduce_implILb1ES3_N6thrust23THRUST_200600_302600_NS11hip_rocprim26transform_input_iterator_tIfNS8_17counting_iteratorIiNS8_11use_defaultESC_SC_EE11estimate_piEEPffNS8_4plusIfEEEE10hipError_tPvRmT1_T2_T3_mT4_P12ihipStream_tbEUlT_E1_NS1_11comp_targetILNS1_3genE2ELNS1_11target_archE906ELNS1_3gpuE6ELNS1_3repE0EEENS1_30default_config_static_selectorELNS0_4arch9wavefront6targetE0EEEvSM_
                                        ; -- End function
	.set _ZN7rocprim17ROCPRIM_400000_NS6detail17trampoline_kernelINS0_14default_configENS1_22reduce_config_selectorIfEEZNS1_11reduce_implILb1ES3_N6thrust23THRUST_200600_302600_NS11hip_rocprim26transform_input_iterator_tIfNS8_17counting_iteratorIiNS8_11use_defaultESC_SC_EE11estimate_piEEPffNS8_4plusIfEEEE10hipError_tPvRmT1_T2_T3_mT4_P12ihipStream_tbEUlT_E1_NS1_11comp_targetILNS1_3genE2ELNS1_11target_archE906ELNS1_3gpuE6ELNS1_3repE0EEENS1_30default_config_static_selectorELNS0_4arch9wavefront6targetE0EEEvSM_.num_vgpr, 0
	.set _ZN7rocprim17ROCPRIM_400000_NS6detail17trampoline_kernelINS0_14default_configENS1_22reduce_config_selectorIfEEZNS1_11reduce_implILb1ES3_N6thrust23THRUST_200600_302600_NS11hip_rocprim26transform_input_iterator_tIfNS8_17counting_iteratorIiNS8_11use_defaultESC_SC_EE11estimate_piEEPffNS8_4plusIfEEEE10hipError_tPvRmT1_T2_T3_mT4_P12ihipStream_tbEUlT_E1_NS1_11comp_targetILNS1_3genE2ELNS1_11target_archE906ELNS1_3gpuE6ELNS1_3repE0EEENS1_30default_config_static_selectorELNS0_4arch9wavefront6targetE0EEEvSM_.num_agpr, 0
	.set _ZN7rocprim17ROCPRIM_400000_NS6detail17trampoline_kernelINS0_14default_configENS1_22reduce_config_selectorIfEEZNS1_11reduce_implILb1ES3_N6thrust23THRUST_200600_302600_NS11hip_rocprim26transform_input_iterator_tIfNS8_17counting_iteratorIiNS8_11use_defaultESC_SC_EE11estimate_piEEPffNS8_4plusIfEEEE10hipError_tPvRmT1_T2_T3_mT4_P12ihipStream_tbEUlT_E1_NS1_11comp_targetILNS1_3genE2ELNS1_11target_archE906ELNS1_3gpuE6ELNS1_3repE0EEENS1_30default_config_static_selectorELNS0_4arch9wavefront6targetE0EEEvSM_.numbered_sgpr, 0
	.set _ZN7rocprim17ROCPRIM_400000_NS6detail17trampoline_kernelINS0_14default_configENS1_22reduce_config_selectorIfEEZNS1_11reduce_implILb1ES3_N6thrust23THRUST_200600_302600_NS11hip_rocprim26transform_input_iterator_tIfNS8_17counting_iteratorIiNS8_11use_defaultESC_SC_EE11estimate_piEEPffNS8_4plusIfEEEE10hipError_tPvRmT1_T2_T3_mT4_P12ihipStream_tbEUlT_E1_NS1_11comp_targetILNS1_3genE2ELNS1_11target_archE906ELNS1_3gpuE6ELNS1_3repE0EEENS1_30default_config_static_selectorELNS0_4arch9wavefront6targetE0EEEvSM_.num_named_barrier, 0
	.set _ZN7rocprim17ROCPRIM_400000_NS6detail17trampoline_kernelINS0_14default_configENS1_22reduce_config_selectorIfEEZNS1_11reduce_implILb1ES3_N6thrust23THRUST_200600_302600_NS11hip_rocprim26transform_input_iterator_tIfNS8_17counting_iteratorIiNS8_11use_defaultESC_SC_EE11estimate_piEEPffNS8_4plusIfEEEE10hipError_tPvRmT1_T2_T3_mT4_P12ihipStream_tbEUlT_E1_NS1_11comp_targetILNS1_3genE2ELNS1_11target_archE906ELNS1_3gpuE6ELNS1_3repE0EEENS1_30default_config_static_selectorELNS0_4arch9wavefront6targetE0EEEvSM_.private_seg_size, 0
	.set _ZN7rocprim17ROCPRIM_400000_NS6detail17trampoline_kernelINS0_14default_configENS1_22reduce_config_selectorIfEEZNS1_11reduce_implILb1ES3_N6thrust23THRUST_200600_302600_NS11hip_rocprim26transform_input_iterator_tIfNS8_17counting_iteratorIiNS8_11use_defaultESC_SC_EE11estimate_piEEPffNS8_4plusIfEEEE10hipError_tPvRmT1_T2_T3_mT4_P12ihipStream_tbEUlT_E1_NS1_11comp_targetILNS1_3genE2ELNS1_11target_archE906ELNS1_3gpuE6ELNS1_3repE0EEENS1_30default_config_static_selectorELNS0_4arch9wavefront6targetE0EEEvSM_.uses_vcc, 0
	.set _ZN7rocprim17ROCPRIM_400000_NS6detail17trampoline_kernelINS0_14default_configENS1_22reduce_config_selectorIfEEZNS1_11reduce_implILb1ES3_N6thrust23THRUST_200600_302600_NS11hip_rocprim26transform_input_iterator_tIfNS8_17counting_iteratorIiNS8_11use_defaultESC_SC_EE11estimate_piEEPffNS8_4plusIfEEEE10hipError_tPvRmT1_T2_T3_mT4_P12ihipStream_tbEUlT_E1_NS1_11comp_targetILNS1_3genE2ELNS1_11target_archE906ELNS1_3gpuE6ELNS1_3repE0EEENS1_30default_config_static_selectorELNS0_4arch9wavefront6targetE0EEEvSM_.uses_flat_scratch, 0
	.set _ZN7rocprim17ROCPRIM_400000_NS6detail17trampoline_kernelINS0_14default_configENS1_22reduce_config_selectorIfEEZNS1_11reduce_implILb1ES3_N6thrust23THRUST_200600_302600_NS11hip_rocprim26transform_input_iterator_tIfNS8_17counting_iteratorIiNS8_11use_defaultESC_SC_EE11estimate_piEEPffNS8_4plusIfEEEE10hipError_tPvRmT1_T2_T3_mT4_P12ihipStream_tbEUlT_E1_NS1_11comp_targetILNS1_3genE2ELNS1_11target_archE906ELNS1_3gpuE6ELNS1_3repE0EEENS1_30default_config_static_selectorELNS0_4arch9wavefront6targetE0EEEvSM_.has_dyn_sized_stack, 0
	.set _ZN7rocprim17ROCPRIM_400000_NS6detail17trampoline_kernelINS0_14default_configENS1_22reduce_config_selectorIfEEZNS1_11reduce_implILb1ES3_N6thrust23THRUST_200600_302600_NS11hip_rocprim26transform_input_iterator_tIfNS8_17counting_iteratorIiNS8_11use_defaultESC_SC_EE11estimate_piEEPffNS8_4plusIfEEEE10hipError_tPvRmT1_T2_T3_mT4_P12ihipStream_tbEUlT_E1_NS1_11comp_targetILNS1_3genE2ELNS1_11target_archE906ELNS1_3gpuE6ELNS1_3repE0EEENS1_30default_config_static_selectorELNS0_4arch9wavefront6targetE0EEEvSM_.has_recursion, 0
	.set _ZN7rocprim17ROCPRIM_400000_NS6detail17trampoline_kernelINS0_14default_configENS1_22reduce_config_selectorIfEEZNS1_11reduce_implILb1ES3_N6thrust23THRUST_200600_302600_NS11hip_rocprim26transform_input_iterator_tIfNS8_17counting_iteratorIiNS8_11use_defaultESC_SC_EE11estimate_piEEPffNS8_4plusIfEEEE10hipError_tPvRmT1_T2_T3_mT4_P12ihipStream_tbEUlT_E1_NS1_11comp_targetILNS1_3genE2ELNS1_11target_archE906ELNS1_3gpuE6ELNS1_3repE0EEENS1_30default_config_static_selectorELNS0_4arch9wavefront6targetE0EEEvSM_.has_indirect_call, 0
	.section	.AMDGPU.csdata,"",@progbits
; Kernel info:
; codeLenInByte = 0
; TotalNumSgprs: 0
; NumVgprs: 0
; ScratchSize: 0
; MemoryBound: 0
; FloatMode: 240
; IeeeMode: 1
; LDSByteSize: 0 bytes/workgroup (compile time only)
; SGPRBlocks: 0
; VGPRBlocks: 0
; NumSGPRsForWavesPerEU: 1
; NumVGPRsForWavesPerEU: 1
; NamedBarCnt: 0
; Occupancy: 16
; WaveLimiterHint : 0
; COMPUTE_PGM_RSRC2:SCRATCH_EN: 0
; COMPUTE_PGM_RSRC2:USER_SGPR: 2
; COMPUTE_PGM_RSRC2:TRAP_HANDLER: 0
; COMPUTE_PGM_RSRC2:TGID_X_EN: 1
; COMPUTE_PGM_RSRC2:TGID_Y_EN: 0
; COMPUTE_PGM_RSRC2:TGID_Z_EN: 0
; COMPUTE_PGM_RSRC2:TIDIG_COMP_CNT: 0
	.section	.text._ZN7rocprim17ROCPRIM_400000_NS6detail17trampoline_kernelINS0_14default_configENS1_22reduce_config_selectorIfEEZNS1_11reduce_implILb1ES3_N6thrust23THRUST_200600_302600_NS11hip_rocprim26transform_input_iterator_tIfNS8_17counting_iteratorIiNS8_11use_defaultESC_SC_EE11estimate_piEEPffNS8_4plusIfEEEE10hipError_tPvRmT1_T2_T3_mT4_P12ihipStream_tbEUlT_E1_NS1_11comp_targetILNS1_3genE10ELNS1_11target_archE1201ELNS1_3gpuE5ELNS1_3repE0EEENS1_30default_config_static_selectorELNS0_4arch9wavefront6targetE0EEEvSM_,"axG",@progbits,_ZN7rocprim17ROCPRIM_400000_NS6detail17trampoline_kernelINS0_14default_configENS1_22reduce_config_selectorIfEEZNS1_11reduce_implILb1ES3_N6thrust23THRUST_200600_302600_NS11hip_rocprim26transform_input_iterator_tIfNS8_17counting_iteratorIiNS8_11use_defaultESC_SC_EE11estimate_piEEPffNS8_4plusIfEEEE10hipError_tPvRmT1_T2_T3_mT4_P12ihipStream_tbEUlT_E1_NS1_11comp_targetILNS1_3genE10ELNS1_11target_archE1201ELNS1_3gpuE5ELNS1_3repE0EEENS1_30default_config_static_selectorELNS0_4arch9wavefront6targetE0EEEvSM_,comdat
	.protected	_ZN7rocprim17ROCPRIM_400000_NS6detail17trampoline_kernelINS0_14default_configENS1_22reduce_config_selectorIfEEZNS1_11reduce_implILb1ES3_N6thrust23THRUST_200600_302600_NS11hip_rocprim26transform_input_iterator_tIfNS8_17counting_iteratorIiNS8_11use_defaultESC_SC_EE11estimate_piEEPffNS8_4plusIfEEEE10hipError_tPvRmT1_T2_T3_mT4_P12ihipStream_tbEUlT_E1_NS1_11comp_targetILNS1_3genE10ELNS1_11target_archE1201ELNS1_3gpuE5ELNS1_3repE0EEENS1_30default_config_static_selectorELNS0_4arch9wavefront6targetE0EEEvSM_ ; -- Begin function _ZN7rocprim17ROCPRIM_400000_NS6detail17trampoline_kernelINS0_14default_configENS1_22reduce_config_selectorIfEEZNS1_11reduce_implILb1ES3_N6thrust23THRUST_200600_302600_NS11hip_rocprim26transform_input_iterator_tIfNS8_17counting_iteratorIiNS8_11use_defaultESC_SC_EE11estimate_piEEPffNS8_4plusIfEEEE10hipError_tPvRmT1_T2_T3_mT4_P12ihipStream_tbEUlT_E1_NS1_11comp_targetILNS1_3genE10ELNS1_11target_archE1201ELNS1_3gpuE5ELNS1_3repE0EEENS1_30default_config_static_selectorELNS0_4arch9wavefront6targetE0EEEvSM_
	.globl	_ZN7rocprim17ROCPRIM_400000_NS6detail17trampoline_kernelINS0_14default_configENS1_22reduce_config_selectorIfEEZNS1_11reduce_implILb1ES3_N6thrust23THRUST_200600_302600_NS11hip_rocprim26transform_input_iterator_tIfNS8_17counting_iteratorIiNS8_11use_defaultESC_SC_EE11estimate_piEEPffNS8_4plusIfEEEE10hipError_tPvRmT1_T2_T3_mT4_P12ihipStream_tbEUlT_E1_NS1_11comp_targetILNS1_3genE10ELNS1_11target_archE1201ELNS1_3gpuE5ELNS1_3repE0EEENS1_30default_config_static_selectorELNS0_4arch9wavefront6targetE0EEEvSM_
	.p2align	8
	.type	_ZN7rocprim17ROCPRIM_400000_NS6detail17trampoline_kernelINS0_14default_configENS1_22reduce_config_selectorIfEEZNS1_11reduce_implILb1ES3_N6thrust23THRUST_200600_302600_NS11hip_rocprim26transform_input_iterator_tIfNS8_17counting_iteratorIiNS8_11use_defaultESC_SC_EE11estimate_piEEPffNS8_4plusIfEEEE10hipError_tPvRmT1_T2_T3_mT4_P12ihipStream_tbEUlT_E1_NS1_11comp_targetILNS1_3genE10ELNS1_11target_archE1201ELNS1_3gpuE5ELNS1_3repE0EEENS1_30default_config_static_selectorELNS0_4arch9wavefront6targetE0EEEvSM_,@function
_ZN7rocprim17ROCPRIM_400000_NS6detail17trampoline_kernelINS0_14default_configENS1_22reduce_config_selectorIfEEZNS1_11reduce_implILb1ES3_N6thrust23THRUST_200600_302600_NS11hip_rocprim26transform_input_iterator_tIfNS8_17counting_iteratorIiNS8_11use_defaultESC_SC_EE11estimate_piEEPffNS8_4plusIfEEEE10hipError_tPvRmT1_T2_T3_mT4_P12ihipStream_tbEUlT_E1_NS1_11comp_targetILNS1_3genE10ELNS1_11target_archE1201ELNS1_3gpuE5ELNS1_3repE0EEENS1_30default_config_static_selectorELNS0_4arch9wavefront6targetE0EEEvSM_: ; @_ZN7rocprim17ROCPRIM_400000_NS6detail17trampoline_kernelINS0_14default_configENS1_22reduce_config_selectorIfEEZNS1_11reduce_implILb1ES3_N6thrust23THRUST_200600_302600_NS11hip_rocprim26transform_input_iterator_tIfNS8_17counting_iteratorIiNS8_11use_defaultESC_SC_EE11estimate_piEEPffNS8_4plusIfEEEE10hipError_tPvRmT1_T2_T3_mT4_P12ihipStream_tbEUlT_E1_NS1_11comp_targetILNS1_3genE10ELNS1_11target_archE1201ELNS1_3gpuE5ELNS1_3repE0EEENS1_30default_config_static_selectorELNS0_4arch9wavefront6targetE0EEEvSM_
; %bb.0:
	.section	.rodata,"a",@progbits
	.p2align	6, 0x0
	.amdhsa_kernel _ZN7rocprim17ROCPRIM_400000_NS6detail17trampoline_kernelINS0_14default_configENS1_22reduce_config_selectorIfEEZNS1_11reduce_implILb1ES3_N6thrust23THRUST_200600_302600_NS11hip_rocprim26transform_input_iterator_tIfNS8_17counting_iteratorIiNS8_11use_defaultESC_SC_EE11estimate_piEEPffNS8_4plusIfEEEE10hipError_tPvRmT1_T2_T3_mT4_P12ihipStream_tbEUlT_E1_NS1_11comp_targetILNS1_3genE10ELNS1_11target_archE1201ELNS1_3gpuE5ELNS1_3repE0EEENS1_30default_config_static_selectorELNS0_4arch9wavefront6targetE0EEEvSM_
		.amdhsa_group_segment_fixed_size 0
		.amdhsa_private_segment_fixed_size 0
		.amdhsa_kernarg_size 40
		.amdhsa_user_sgpr_count 2
		.amdhsa_user_sgpr_dispatch_ptr 0
		.amdhsa_user_sgpr_queue_ptr 0
		.amdhsa_user_sgpr_kernarg_segment_ptr 1
		.amdhsa_user_sgpr_dispatch_id 0
		.amdhsa_user_sgpr_kernarg_preload_length 0
		.amdhsa_user_sgpr_kernarg_preload_offset 0
		.amdhsa_user_sgpr_private_segment_size 0
		.amdhsa_wavefront_size32 1
		.amdhsa_uses_dynamic_stack 0
		.amdhsa_enable_private_segment 0
		.amdhsa_system_sgpr_workgroup_id_x 1
		.amdhsa_system_sgpr_workgroup_id_y 0
		.amdhsa_system_sgpr_workgroup_id_z 0
		.amdhsa_system_sgpr_workgroup_info 0
		.amdhsa_system_vgpr_workitem_id 0
		.amdhsa_next_free_vgpr 1
		.amdhsa_next_free_sgpr 1
		.amdhsa_named_barrier_count 0
		.amdhsa_reserve_vcc 0
		.amdhsa_float_round_mode_32 0
		.amdhsa_float_round_mode_16_64 0
		.amdhsa_float_denorm_mode_32 3
		.amdhsa_float_denorm_mode_16_64 3
		.amdhsa_fp16_overflow 0
		.amdhsa_memory_ordered 1
		.amdhsa_forward_progress 1
		.amdhsa_inst_pref_size 0
		.amdhsa_round_robin_scheduling 0
		.amdhsa_exception_fp_ieee_invalid_op 0
		.amdhsa_exception_fp_denorm_src 0
		.amdhsa_exception_fp_ieee_div_zero 0
		.amdhsa_exception_fp_ieee_overflow 0
		.amdhsa_exception_fp_ieee_underflow 0
		.amdhsa_exception_fp_ieee_inexact 0
		.amdhsa_exception_int_div_zero 0
	.end_amdhsa_kernel
	.section	.text._ZN7rocprim17ROCPRIM_400000_NS6detail17trampoline_kernelINS0_14default_configENS1_22reduce_config_selectorIfEEZNS1_11reduce_implILb1ES3_N6thrust23THRUST_200600_302600_NS11hip_rocprim26transform_input_iterator_tIfNS8_17counting_iteratorIiNS8_11use_defaultESC_SC_EE11estimate_piEEPffNS8_4plusIfEEEE10hipError_tPvRmT1_T2_T3_mT4_P12ihipStream_tbEUlT_E1_NS1_11comp_targetILNS1_3genE10ELNS1_11target_archE1201ELNS1_3gpuE5ELNS1_3repE0EEENS1_30default_config_static_selectorELNS0_4arch9wavefront6targetE0EEEvSM_,"axG",@progbits,_ZN7rocprim17ROCPRIM_400000_NS6detail17trampoline_kernelINS0_14default_configENS1_22reduce_config_selectorIfEEZNS1_11reduce_implILb1ES3_N6thrust23THRUST_200600_302600_NS11hip_rocprim26transform_input_iterator_tIfNS8_17counting_iteratorIiNS8_11use_defaultESC_SC_EE11estimate_piEEPffNS8_4plusIfEEEE10hipError_tPvRmT1_T2_T3_mT4_P12ihipStream_tbEUlT_E1_NS1_11comp_targetILNS1_3genE10ELNS1_11target_archE1201ELNS1_3gpuE5ELNS1_3repE0EEENS1_30default_config_static_selectorELNS0_4arch9wavefront6targetE0EEEvSM_,comdat
.Lfunc_end33:
	.size	_ZN7rocprim17ROCPRIM_400000_NS6detail17trampoline_kernelINS0_14default_configENS1_22reduce_config_selectorIfEEZNS1_11reduce_implILb1ES3_N6thrust23THRUST_200600_302600_NS11hip_rocprim26transform_input_iterator_tIfNS8_17counting_iteratorIiNS8_11use_defaultESC_SC_EE11estimate_piEEPffNS8_4plusIfEEEE10hipError_tPvRmT1_T2_T3_mT4_P12ihipStream_tbEUlT_E1_NS1_11comp_targetILNS1_3genE10ELNS1_11target_archE1201ELNS1_3gpuE5ELNS1_3repE0EEENS1_30default_config_static_selectorELNS0_4arch9wavefront6targetE0EEEvSM_, .Lfunc_end33-_ZN7rocprim17ROCPRIM_400000_NS6detail17trampoline_kernelINS0_14default_configENS1_22reduce_config_selectorIfEEZNS1_11reduce_implILb1ES3_N6thrust23THRUST_200600_302600_NS11hip_rocprim26transform_input_iterator_tIfNS8_17counting_iteratorIiNS8_11use_defaultESC_SC_EE11estimate_piEEPffNS8_4plusIfEEEE10hipError_tPvRmT1_T2_T3_mT4_P12ihipStream_tbEUlT_E1_NS1_11comp_targetILNS1_3genE10ELNS1_11target_archE1201ELNS1_3gpuE5ELNS1_3repE0EEENS1_30default_config_static_selectorELNS0_4arch9wavefront6targetE0EEEvSM_
                                        ; -- End function
	.set _ZN7rocprim17ROCPRIM_400000_NS6detail17trampoline_kernelINS0_14default_configENS1_22reduce_config_selectorIfEEZNS1_11reduce_implILb1ES3_N6thrust23THRUST_200600_302600_NS11hip_rocprim26transform_input_iterator_tIfNS8_17counting_iteratorIiNS8_11use_defaultESC_SC_EE11estimate_piEEPffNS8_4plusIfEEEE10hipError_tPvRmT1_T2_T3_mT4_P12ihipStream_tbEUlT_E1_NS1_11comp_targetILNS1_3genE10ELNS1_11target_archE1201ELNS1_3gpuE5ELNS1_3repE0EEENS1_30default_config_static_selectorELNS0_4arch9wavefront6targetE0EEEvSM_.num_vgpr, 0
	.set _ZN7rocprim17ROCPRIM_400000_NS6detail17trampoline_kernelINS0_14default_configENS1_22reduce_config_selectorIfEEZNS1_11reduce_implILb1ES3_N6thrust23THRUST_200600_302600_NS11hip_rocprim26transform_input_iterator_tIfNS8_17counting_iteratorIiNS8_11use_defaultESC_SC_EE11estimate_piEEPffNS8_4plusIfEEEE10hipError_tPvRmT1_T2_T3_mT4_P12ihipStream_tbEUlT_E1_NS1_11comp_targetILNS1_3genE10ELNS1_11target_archE1201ELNS1_3gpuE5ELNS1_3repE0EEENS1_30default_config_static_selectorELNS0_4arch9wavefront6targetE0EEEvSM_.num_agpr, 0
	.set _ZN7rocprim17ROCPRIM_400000_NS6detail17trampoline_kernelINS0_14default_configENS1_22reduce_config_selectorIfEEZNS1_11reduce_implILb1ES3_N6thrust23THRUST_200600_302600_NS11hip_rocprim26transform_input_iterator_tIfNS8_17counting_iteratorIiNS8_11use_defaultESC_SC_EE11estimate_piEEPffNS8_4plusIfEEEE10hipError_tPvRmT1_T2_T3_mT4_P12ihipStream_tbEUlT_E1_NS1_11comp_targetILNS1_3genE10ELNS1_11target_archE1201ELNS1_3gpuE5ELNS1_3repE0EEENS1_30default_config_static_selectorELNS0_4arch9wavefront6targetE0EEEvSM_.numbered_sgpr, 0
	.set _ZN7rocprim17ROCPRIM_400000_NS6detail17trampoline_kernelINS0_14default_configENS1_22reduce_config_selectorIfEEZNS1_11reduce_implILb1ES3_N6thrust23THRUST_200600_302600_NS11hip_rocprim26transform_input_iterator_tIfNS8_17counting_iteratorIiNS8_11use_defaultESC_SC_EE11estimate_piEEPffNS8_4plusIfEEEE10hipError_tPvRmT1_T2_T3_mT4_P12ihipStream_tbEUlT_E1_NS1_11comp_targetILNS1_3genE10ELNS1_11target_archE1201ELNS1_3gpuE5ELNS1_3repE0EEENS1_30default_config_static_selectorELNS0_4arch9wavefront6targetE0EEEvSM_.num_named_barrier, 0
	.set _ZN7rocprim17ROCPRIM_400000_NS6detail17trampoline_kernelINS0_14default_configENS1_22reduce_config_selectorIfEEZNS1_11reduce_implILb1ES3_N6thrust23THRUST_200600_302600_NS11hip_rocprim26transform_input_iterator_tIfNS8_17counting_iteratorIiNS8_11use_defaultESC_SC_EE11estimate_piEEPffNS8_4plusIfEEEE10hipError_tPvRmT1_T2_T3_mT4_P12ihipStream_tbEUlT_E1_NS1_11comp_targetILNS1_3genE10ELNS1_11target_archE1201ELNS1_3gpuE5ELNS1_3repE0EEENS1_30default_config_static_selectorELNS0_4arch9wavefront6targetE0EEEvSM_.private_seg_size, 0
	.set _ZN7rocprim17ROCPRIM_400000_NS6detail17trampoline_kernelINS0_14default_configENS1_22reduce_config_selectorIfEEZNS1_11reduce_implILb1ES3_N6thrust23THRUST_200600_302600_NS11hip_rocprim26transform_input_iterator_tIfNS8_17counting_iteratorIiNS8_11use_defaultESC_SC_EE11estimate_piEEPffNS8_4plusIfEEEE10hipError_tPvRmT1_T2_T3_mT4_P12ihipStream_tbEUlT_E1_NS1_11comp_targetILNS1_3genE10ELNS1_11target_archE1201ELNS1_3gpuE5ELNS1_3repE0EEENS1_30default_config_static_selectorELNS0_4arch9wavefront6targetE0EEEvSM_.uses_vcc, 0
	.set _ZN7rocprim17ROCPRIM_400000_NS6detail17trampoline_kernelINS0_14default_configENS1_22reduce_config_selectorIfEEZNS1_11reduce_implILb1ES3_N6thrust23THRUST_200600_302600_NS11hip_rocprim26transform_input_iterator_tIfNS8_17counting_iteratorIiNS8_11use_defaultESC_SC_EE11estimate_piEEPffNS8_4plusIfEEEE10hipError_tPvRmT1_T2_T3_mT4_P12ihipStream_tbEUlT_E1_NS1_11comp_targetILNS1_3genE10ELNS1_11target_archE1201ELNS1_3gpuE5ELNS1_3repE0EEENS1_30default_config_static_selectorELNS0_4arch9wavefront6targetE0EEEvSM_.uses_flat_scratch, 0
	.set _ZN7rocprim17ROCPRIM_400000_NS6detail17trampoline_kernelINS0_14default_configENS1_22reduce_config_selectorIfEEZNS1_11reduce_implILb1ES3_N6thrust23THRUST_200600_302600_NS11hip_rocprim26transform_input_iterator_tIfNS8_17counting_iteratorIiNS8_11use_defaultESC_SC_EE11estimate_piEEPffNS8_4plusIfEEEE10hipError_tPvRmT1_T2_T3_mT4_P12ihipStream_tbEUlT_E1_NS1_11comp_targetILNS1_3genE10ELNS1_11target_archE1201ELNS1_3gpuE5ELNS1_3repE0EEENS1_30default_config_static_selectorELNS0_4arch9wavefront6targetE0EEEvSM_.has_dyn_sized_stack, 0
	.set _ZN7rocprim17ROCPRIM_400000_NS6detail17trampoline_kernelINS0_14default_configENS1_22reduce_config_selectorIfEEZNS1_11reduce_implILb1ES3_N6thrust23THRUST_200600_302600_NS11hip_rocprim26transform_input_iterator_tIfNS8_17counting_iteratorIiNS8_11use_defaultESC_SC_EE11estimate_piEEPffNS8_4plusIfEEEE10hipError_tPvRmT1_T2_T3_mT4_P12ihipStream_tbEUlT_E1_NS1_11comp_targetILNS1_3genE10ELNS1_11target_archE1201ELNS1_3gpuE5ELNS1_3repE0EEENS1_30default_config_static_selectorELNS0_4arch9wavefront6targetE0EEEvSM_.has_recursion, 0
	.set _ZN7rocprim17ROCPRIM_400000_NS6detail17trampoline_kernelINS0_14default_configENS1_22reduce_config_selectorIfEEZNS1_11reduce_implILb1ES3_N6thrust23THRUST_200600_302600_NS11hip_rocprim26transform_input_iterator_tIfNS8_17counting_iteratorIiNS8_11use_defaultESC_SC_EE11estimate_piEEPffNS8_4plusIfEEEE10hipError_tPvRmT1_T2_T3_mT4_P12ihipStream_tbEUlT_E1_NS1_11comp_targetILNS1_3genE10ELNS1_11target_archE1201ELNS1_3gpuE5ELNS1_3repE0EEENS1_30default_config_static_selectorELNS0_4arch9wavefront6targetE0EEEvSM_.has_indirect_call, 0
	.section	.AMDGPU.csdata,"",@progbits
; Kernel info:
; codeLenInByte = 0
; TotalNumSgprs: 0
; NumVgprs: 0
; ScratchSize: 0
; MemoryBound: 0
; FloatMode: 240
; IeeeMode: 1
; LDSByteSize: 0 bytes/workgroup (compile time only)
; SGPRBlocks: 0
; VGPRBlocks: 0
; NumSGPRsForWavesPerEU: 1
; NumVGPRsForWavesPerEU: 1
; NamedBarCnt: 0
; Occupancy: 16
; WaveLimiterHint : 0
; COMPUTE_PGM_RSRC2:SCRATCH_EN: 0
; COMPUTE_PGM_RSRC2:USER_SGPR: 2
; COMPUTE_PGM_RSRC2:TRAP_HANDLER: 0
; COMPUTE_PGM_RSRC2:TGID_X_EN: 1
; COMPUTE_PGM_RSRC2:TGID_Y_EN: 0
; COMPUTE_PGM_RSRC2:TGID_Z_EN: 0
; COMPUTE_PGM_RSRC2:TIDIG_COMP_CNT: 0
	.section	.text._ZN7rocprim17ROCPRIM_400000_NS6detail17trampoline_kernelINS0_14default_configENS1_22reduce_config_selectorIfEEZNS1_11reduce_implILb1ES3_N6thrust23THRUST_200600_302600_NS11hip_rocprim26transform_input_iterator_tIfNS8_17counting_iteratorIiNS8_11use_defaultESC_SC_EE11estimate_piEEPffNS8_4plusIfEEEE10hipError_tPvRmT1_T2_T3_mT4_P12ihipStream_tbEUlT_E1_NS1_11comp_targetILNS1_3genE10ELNS1_11target_archE1200ELNS1_3gpuE4ELNS1_3repE0EEENS1_30default_config_static_selectorELNS0_4arch9wavefront6targetE0EEEvSM_,"axG",@progbits,_ZN7rocprim17ROCPRIM_400000_NS6detail17trampoline_kernelINS0_14default_configENS1_22reduce_config_selectorIfEEZNS1_11reduce_implILb1ES3_N6thrust23THRUST_200600_302600_NS11hip_rocprim26transform_input_iterator_tIfNS8_17counting_iteratorIiNS8_11use_defaultESC_SC_EE11estimate_piEEPffNS8_4plusIfEEEE10hipError_tPvRmT1_T2_T3_mT4_P12ihipStream_tbEUlT_E1_NS1_11comp_targetILNS1_3genE10ELNS1_11target_archE1200ELNS1_3gpuE4ELNS1_3repE0EEENS1_30default_config_static_selectorELNS0_4arch9wavefront6targetE0EEEvSM_,comdat
	.protected	_ZN7rocprim17ROCPRIM_400000_NS6detail17trampoline_kernelINS0_14default_configENS1_22reduce_config_selectorIfEEZNS1_11reduce_implILb1ES3_N6thrust23THRUST_200600_302600_NS11hip_rocprim26transform_input_iterator_tIfNS8_17counting_iteratorIiNS8_11use_defaultESC_SC_EE11estimate_piEEPffNS8_4plusIfEEEE10hipError_tPvRmT1_T2_T3_mT4_P12ihipStream_tbEUlT_E1_NS1_11comp_targetILNS1_3genE10ELNS1_11target_archE1200ELNS1_3gpuE4ELNS1_3repE0EEENS1_30default_config_static_selectorELNS0_4arch9wavefront6targetE0EEEvSM_ ; -- Begin function _ZN7rocprim17ROCPRIM_400000_NS6detail17trampoline_kernelINS0_14default_configENS1_22reduce_config_selectorIfEEZNS1_11reduce_implILb1ES3_N6thrust23THRUST_200600_302600_NS11hip_rocprim26transform_input_iterator_tIfNS8_17counting_iteratorIiNS8_11use_defaultESC_SC_EE11estimate_piEEPffNS8_4plusIfEEEE10hipError_tPvRmT1_T2_T3_mT4_P12ihipStream_tbEUlT_E1_NS1_11comp_targetILNS1_3genE10ELNS1_11target_archE1200ELNS1_3gpuE4ELNS1_3repE0EEENS1_30default_config_static_selectorELNS0_4arch9wavefront6targetE0EEEvSM_
	.globl	_ZN7rocprim17ROCPRIM_400000_NS6detail17trampoline_kernelINS0_14default_configENS1_22reduce_config_selectorIfEEZNS1_11reduce_implILb1ES3_N6thrust23THRUST_200600_302600_NS11hip_rocprim26transform_input_iterator_tIfNS8_17counting_iteratorIiNS8_11use_defaultESC_SC_EE11estimate_piEEPffNS8_4plusIfEEEE10hipError_tPvRmT1_T2_T3_mT4_P12ihipStream_tbEUlT_E1_NS1_11comp_targetILNS1_3genE10ELNS1_11target_archE1200ELNS1_3gpuE4ELNS1_3repE0EEENS1_30default_config_static_selectorELNS0_4arch9wavefront6targetE0EEEvSM_
	.p2align	8
	.type	_ZN7rocprim17ROCPRIM_400000_NS6detail17trampoline_kernelINS0_14default_configENS1_22reduce_config_selectorIfEEZNS1_11reduce_implILb1ES3_N6thrust23THRUST_200600_302600_NS11hip_rocprim26transform_input_iterator_tIfNS8_17counting_iteratorIiNS8_11use_defaultESC_SC_EE11estimate_piEEPffNS8_4plusIfEEEE10hipError_tPvRmT1_T2_T3_mT4_P12ihipStream_tbEUlT_E1_NS1_11comp_targetILNS1_3genE10ELNS1_11target_archE1200ELNS1_3gpuE4ELNS1_3repE0EEENS1_30default_config_static_selectorELNS0_4arch9wavefront6targetE0EEEvSM_,@function
_ZN7rocprim17ROCPRIM_400000_NS6detail17trampoline_kernelINS0_14default_configENS1_22reduce_config_selectorIfEEZNS1_11reduce_implILb1ES3_N6thrust23THRUST_200600_302600_NS11hip_rocprim26transform_input_iterator_tIfNS8_17counting_iteratorIiNS8_11use_defaultESC_SC_EE11estimate_piEEPffNS8_4plusIfEEEE10hipError_tPvRmT1_T2_T3_mT4_P12ihipStream_tbEUlT_E1_NS1_11comp_targetILNS1_3genE10ELNS1_11target_archE1200ELNS1_3gpuE4ELNS1_3repE0EEENS1_30default_config_static_selectorELNS0_4arch9wavefront6targetE0EEEvSM_: ; @_ZN7rocprim17ROCPRIM_400000_NS6detail17trampoline_kernelINS0_14default_configENS1_22reduce_config_selectorIfEEZNS1_11reduce_implILb1ES3_N6thrust23THRUST_200600_302600_NS11hip_rocprim26transform_input_iterator_tIfNS8_17counting_iteratorIiNS8_11use_defaultESC_SC_EE11estimate_piEEPffNS8_4plusIfEEEE10hipError_tPvRmT1_T2_T3_mT4_P12ihipStream_tbEUlT_E1_NS1_11comp_targetILNS1_3genE10ELNS1_11target_archE1200ELNS1_3gpuE4ELNS1_3repE0EEENS1_30default_config_static_selectorELNS0_4arch9wavefront6targetE0EEEvSM_
; %bb.0:
	.section	.rodata,"a",@progbits
	.p2align	6, 0x0
	.amdhsa_kernel _ZN7rocprim17ROCPRIM_400000_NS6detail17trampoline_kernelINS0_14default_configENS1_22reduce_config_selectorIfEEZNS1_11reduce_implILb1ES3_N6thrust23THRUST_200600_302600_NS11hip_rocprim26transform_input_iterator_tIfNS8_17counting_iteratorIiNS8_11use_defaultESC_SC_EE11estimate_piEEPffNS8_4plusIfEEEE10hipError_tPvRmT1_T2_T3_mT4_P12ihipStream_tbEUlT_E1_NS1_11comp_targetILNS1_3genE10ELNS1_11target_archE1200ELNS1_3gpuE4ELNS1_3repE0EEENS1_30default_config_static_selectorELNS0_4arch9wavefront6targetE0EEEvSM_
		.amdhsa_group_segment_fixed_size 0
		.amdhsa_private_segment_fixed_size 0
		.amdhsa_kernarg_size 40
		.amdhsa_user_sgpr_count 2
		.amdhsa_user_sgpr_dispatch_ptr 0
		.amdhsa_user_sgpr_queue_ptr 0
		.amdhsa_user_sgpr_kernarg_segment_ptr 1
		.amdhsa_user_sgpr_dispatch_id 0
		.amdhsa_user_sgpr_kernarg_preload_length 0
		.amdhsa_user_sgpr_kernarg_preload_offset 0
		.amdhsa_user_sgpr_private_segment_size 0
		.amdhsa_wavefront_size32 1
		.amdhsa_uses_dynamic_stack 0
		.amdhsa_enable_private_segment 0
		.amdhsa_system_sgpr_workgroup_id_x 1
		.amdhsa_system_sgpr_workgroup_id_y 0
		.amdhsa_system_sgpr_workgroup_id_z 0
		.amdhsa_system_sgpr_workgroup_info 0
		.amdhsa_system_vgpr_workitem_id 0
		.amdhsa_next_free_vgpr 1
		.amdhsa_next_free_sgpr 1
		.amdhsa_named_barrier_count 0
		.amdhsa_reserve_vcc 0
		.amdhsa_float_round_mode_32 0
		.amdhsa_float_round_mode_16_64 0
		.amdhsa_float_denorm_mode_32 3
		.amdhsa_float_denorm_mode_16_64 3
		.amdhsa_fp16_overflow 0
		.amdhsa_memory_ordered 1
		.amdhsa_forward_progress 1
		.amdhsa_inst_pref_size 0
		.amdhsa_round_robin_scheduling 0
		.amdhsa_exception_fp_ieee_invalid_op 0
		.amdhsa_exception_fp_denorm_src 0
		.amdhsa_exception_fp_ieee_div_zero 0
		.amdhsa_exception_fp_ieee_overflow 0
		.amdhsa_exception_fp_ieee_underflow 0
		.amdhsa_exception_fp_ieee_inexact 0
		.amdhsa_exception_int_div_zero 0
	.end_amdhsa_kernel
	.section	.text._ZN7rocprim17ROCPRIM_400000_NS6detail17trampoline_kernelINS0_14default_configENS1_22reduce_config_selectorIfEEZNS1_11reduce_implILb1ES3_N6thrust23THRUST_200600_302600_NS11hip_rocprim26transform_input_iterator_tIfNS8_17counting_iteratorIiNS8_11use_defaultESC_SC_EE11estimate_piEEPffNS8_4plusIfEEEE10hipError_tPvRmT1_T2_T3_mT4_P12ihipStream_tbEUlT_E1_NS1_11comp_targetILNS1_3genE10ELNS1_11target_archE1200ELNS1_3gpuE4ELNS1_3repE0EEENS1_30default_config_static_selectorELNS0_4arch9wavefront6targetE0EEEvSM_,"axG",@progbits,_ZN7rocprim17ROCPRIM_400000_NS6detail17trampoline_kernelINS0_14default_configENS1_22reduce_config_selectorIfEEZNS1_11reduce_implILb1ES3_N6thrust23THRUST_200600_302600_NS11hip_rocprim26transform_input_iterator_tIfNS8_17counting_iteratorIiNS8_11use_defaultESC_SC_EE11estimate_piEEPffNS8_4plusIfEEEE10hipError_tPvRmT1_T2_T3_mT4_P12ihipStream_tbEUlT_E1_NS1_11comp_targetILNS1_3genE10ELNS1_11target_archE1200ELNS1_3gpuE4ELNS1_3repE0EEENS1_30default_config_static_selectorELNS0_4arch9wavefront6targetE0EEEvSM_,comdat
.Lfunc_end34:
	.size	_ZN7rocprim17ROCPRIM_400000_NS6detail17trampoline_kernelINS0_14default_configENS1_22reduce_config_selectorIfEEZNS1_11reduce_implILb1ES3_N6thrust23THRUST_200600_302600_NS11hip_rocprim26transform_input_iterator_tIfNS8_17counting_iteratorIiNS8_11use_defaultESC_SC_EE11estimate_piEEPffNS8_4plusIfEEEE10hipError_tPvRmT1_T2_T3_mT4_P12ihipStream_tbEUlT_E1_NS1_11comp_targetILNS1_3genE10ELNS1_11target_archE1200ELNS1_3gpuE4ELNS1_3repE0EEENS1_30default_config_static_selectorELNS0_4arch9wavefront6targetE0EEEvSM_, .Lfunc_end34-_ZN7rocprim17ROCPRIM_400000_NS6detail17trampoline_kernelINS0_14default_configENS1_22reduce_config_selectorIfEEZNS1_11reduce_implILb1ES3_N6thrust23THRUST_200600_302600_NS11hip_rocprim26transform_input_iterator_tIfNS8_17counting_iteratorIiNS8_11use_defaultESC_SC_EE11estimate_piEEPffNS8_4plusIfEEEE10hipError_tPvRmT1_T2_T3_mT4_P12ihipStream_tbEUlT_E1_NS1_11comp_targetILNS1_3genE10ELNS1_11target_archE1200ELNS1_3gpuE4ELNS1_3repE0EEENS1_30default_config_static_selectorELNS0_4arch9wavefront6targetE0EEEvSM_
                                        ; -- End function
	.set _ZN7rocprim17ROCPRIM_400000_NS6detail17trampoline_kernelINS0_14default_configENS1_22reduce_config_selectorIfEEZNS1_11reduce_implILb1ES3_N6thrust23THRUST_200600_302600_NS11hip_rocprim26transform_input_iterator_tIfNS8_17counting_iteratorIiNS8_11use_defaultESC_SC_EE11estimate_piEEPffNS8_4plusIfEEEE10hipError_tPvRmT1_T2_T3_mT4_P12ihipStream_tbEUlT_E1_NS1_11comp_targetILNS1_3genE10ELNS1_11target_archE1200ELNS1_3gpuE4ELNS1_3repE0EEENS1_30default_config_static_selectorELNS0_4arch9wavefront6targetE0EEEvSM_.num_vgpr, 0
	.set _ZN7rocprim17ROCPRIM_400000_NS6detail17trampoline_kernelINS0_14default_configENS1_22reduce_config_selectorIfEEZNS1_11reduce_implILb1ES3_N6thrust23THRUST_200600_302600_NS11hip_rocprim26transform_input_iterator_tIfNS8_17counting_iteratorIiNS8_11use_defaultESC_SC_EE11estimate_piEEPffNS8_4plusIfEEEE10hipError_tPvRmT1_T2_T3_mT4_P12ihipStream_tbEUlT_E1_NS1_11comp_targetILNS1_3genE10ELNS1_11target_archE1200ELNS1_3gpuE4ELNS1_3repE0EEENS1_30default_config_static_selectorELNS0_4arch9wavefront6targetE0EEEvSM_.num_agpr, 0
	.set _ZN7rocprim17ROCPRIM_400000_NS6detail17trampoline_kernelINS0_14default_configENS1_22reduce_config_selectorIfEEZNS1_11reduce_implILb1ES3_N6thrust23THRUST_200600_302600_NS11hip_rocprim26transform_input_iterator_tIfNS8_17counting_iteratorIiNS8_11use_defaultESC_SC_EE11estimate_piEEPffNS8_4plusIfEEEE10hipError_tPvRmT1_T2_T3_mT4_P12ihipStream_tbEUlT_E1_NS1_11comp_targetILNS1_3genE10ELNS1_11target_archE1200ELNS1_3gpuE4ELNS1_3repE0EEENS1_30default_config_static_selectorELNS0_4arch9wavefront6targetE0EEEvSM_.numbered_sgpr, 0
	.set _ZN7rocprim17ROCPRIM_400000_NS6detail17trampoline_kernelINS0_14default_configENS1_22reduce_config_selectorIfEEZNS1_11reduce_implILb1ES3_N6thrust23THRUST_200600_302600_NS11hip_rocprim26transform_input_iterator_tIfNS8_17counting_iteratorIiNS8_11use_defaultESC_SC_EE11estimate_piEEPffNS8_4plusIfEEEE10hipError_tPvRmT1_T2_T3_mT4_P12ihipStream_tbEUlT_E1_NS1_11comp_targetILNS1_3genE10ELNS1_11target_archE1200ELNS1_3gpuE4ELNS1_3repE0EEENS1_30default_config_static_selectorELNS0_4arch9wavefront6targetE0EEEvSM_.num_named_barrier, 0
	.set _ZN7rocprim17ROCPRIM_400000_NS6detail17trampoline_kernelINS0_14default_configENS1_22reduce_config_selectorIfEEZNS1_11reduce_implILb1ES3_N6thrust23THRUST_200600_302600_NS11hip_rocprim26transform_input_iterator_tIfNS8_17counting_iteratorIiNS8_11use_defaultESC_SC_EE11estimate_piEEPffNS8_4plusIfEEEE10hipError_tPvRmT1_T2_T3_mT4_P12ihipStream_tbEUlT_E1_NS1_11comp_targetILNS1_3genE10ELNS1_11target_archE1200ELNS1_3gpuE4ELNS1_3repE0EEENS1_30default_config_static_selectorELNS0_4arch9wavefront6targetE0EEEvSM_.private_seg_size, 0
	.set _ZN7rocprim17ROCPRIM_400000_NS6detail17trampoline_kernelINS0_14default_configENS1_22reduce_config_selectorIfEEZNS1_11reduce_implILb1ES3_N6thrust23THRUST_200600_302600_NS11hip_rocprim26transform_input_iterator_tIfNS8_17counting_iteratorIiNS8_11use_defaultESC_SC_EE11estimate_piEEPffNS8_4plusIfEEEE10hipError_tPvRmT1_T2_T3_mT4_P12ihipStream_tbEUlT_E1_NS1_11comp_targetILNS1_3genE10ELNS1_11target_archE1200ELNS1_3gpuE4ELNS1_3repE0EEENS1_30default_config_static_selectorELNS0_4arch9wavefront6targetE0EEEvSM_.uses_vcc, 0
	.set _ZN7rocprim17ROCPRIM_400000_NS6detail17trampoline_kernelINS0_14default_configENS1_22reduce_config_selectorIfEEZNS1_11reduce_implILb1ES3_N6thrust23THRUST_200600_302600_NS11hip_rocprim26transform_input_iterator_tIfNS8_17counting_iteratorIiNS8_11use_defaultESC_SC_EE11estimate_piEEPffNS8_4plusIfEEEE10hipError_tPvRmT1_T2_T3_mT4_P12ihipStream_tbEUlT_E1_NS1_11comp_targetILNS1_3genE10ELNS1_11target_archE1200ELNS1_3gpuE4ELNS1_3repE0EEENS1_30default_config_static_selectorELNS0_4arch9wavefront6targetE0EEEvSM_.uses_flat_scratch, 0
	.set _ZN7rocprim17ROCPRIM_400000_NS6detail17trampoline_kernelINS0_14default_configENS1_22reduce_config_selectorIfEEZNS1_11reduce_implILb1ES3_N6thrust23THRUST_200600_302600_NS11hip_rocprim26transform_input_iterator_tIfNS8_17counting_iteratorIiNS8_11use_defaultESC_SC_EE11estimate_piEEPffNS8_4plusIfEEEE10hipError_tPvRmT1_T2_T3_mT4_P12ihipStream_tbEUlT_E1_NS1_11comp_targetILNS1_3genE10ELNS1_11target_archE1200ELNS1_3gpuE4ELNS1_3repE0EEENS1_30default_config_static_selectorELNS0_4arch9wavefront6targetE0EEEvSM_.has_dyn_sized_stack, 0
	.set _ZN7rocprim17ROCPRIM_400000_NS6detail17trampoline_kernelINS0_14default_configENS1_22reduce_config_selectorIfEEZNS1_11reduce_implILb1ES3_N6thrust23THRUST_200600_302600_NS11hip_rocprim26transform_input_iterator_tIfNS8_17counting_iteratorIiNS8_11use_defaultESC_SC_EE11estimate_piEEPffNS8_4plusIfEEEE10hipError_tPvRmT1_T2_T3_mT4_P12ihipStream_tbEUlT_E1_NS1_11comp_targetILNS1_3genE10ELNS1_11target_archE1200ELNS1_3gpuE4ELNS1_3repE0EEENS1_30default_config_static_selectorELNS0_4arch9wavefront6targetE0EEEvSM_.has_recursion, 0
	.set _ZN7rocprim17ROCPRIM_400000_NS6detail17trampoline_kernelINS0_14default_configENS1_22reduce_config_selectorIfEEZNS1_11reduce_implILb1ES3_N6thrust23THRUST_200600_302600_NS11hip_rocprim26transform_input_iterator_tIfNS8_17counting_iteratorIiNS8_11use_defaultESC_SC_EE11estimate_piEEPffNS8_4plusIfEEEE10hipError_tPvRmT1_T2_T3_mT4_P12ihipStream_tbEUlT_E1_NS1_11comp_targetILNS1_3genE10ELNS1_11target_archE1200ELNS1_3gpuE4ELNS1_3repE0EEENS1_30default_config_static_selectorELNS0_4arch9wavefront6targetE0EEEvSM_.has_indirect_call, 0
	.section	.AMDGPU.csdata,"",@progbits
; Kernel info:
; codeLenInByte = 0
; TotalNumSgprs: 0
; NumVgprs: 0
; ScratchSize: 0
; MemoryBound: 0
; FloatMode: 240
; IeeeMode: 1
; LDSByteSize: 0 bytes/workgroup (compile time only)
; SGPRBlocks: 0
; VGPRBlocks: 0
; NumSGPRsForWavesPerEU: 1
; NumVGPRsForWavesPerEU: 1
; NamedBarCnt: 0
; Occupancy: 16
; WaveLimiterHint : 0
; COMPUTE_PGM_RSRC2:SCRATCH_EN: 0
; COMPUTE_PGM_RSRC2:USER_SGPR: 2
; COMPUTE_PGM_RSRC2:TRAP_HANDLER: 0
; COMPUTE_PGM_RSRC2:TGID_X_EN: 1
; COMPUTE_PGM_RSRC2:TGID_Y_EN: 0
; COMPUTE_PGM_RSRC2:TGID_Z_EN: 0
; COMPUTE_PGM_RSRC2:TIDIG_COMP_CNT: 0
	.section	.text._ZN7rocprim17ROCPRIM_400000_NS6detail17trampoline_kernelINS0_14default_configENS1_22reduce_config_selectorIfEEZNS1_11reduce_implILb1ES3_N6thrust23THRUST_200600_302600_NS11hip_rocprim26transform_input_iterator_tIfNS8_17counting_iteratorIiNS8_11use_defaultESC_SC_EE11estimate_piEEPffNS8_4plusIfEEEE10hipError_tPvRmT1_T2_T3_mT4_P12ihipStream_tbEUlT_E1_NS1_11comp_targetILNS1_3genE9ELNS1_11target_archE1100ELNS1_3gpuE3ELNS1_3repE0EEENS1_30default_config_static_selectorELNS0_4arch9wavefront6targetE0EEEvSM_,"axG",@progbits,_ZN7rocprim17ROCPRIM_400000_NS6detail17trampoline_kernelINS0_14default_configENS1_22reduce_config_selectorIfEEZNS1_11reduce_implILb1ES3_N6thrust23THRUST_200600_302600_NS11hip_rocprim26transform_input_iterator_tIfNS8_17counting_iteratorIiNS8_11use_defaultESC_SC_EE11estimate_piEEPffNS8_4plusIfEEEE10hipError_tPvRmT1_T2_T3_mT4_P12ihipStream_tbEUlT_E1_NS1_11comp_targetILNS1_3genE9ELNS1_11target_archE1100ELNS1_3gpuE3ELNS1_3repE0EEENS1_30default_config_static_selectorELNS0_4arch9wavefront6targetE0EEEvSM_,comdat
	.protected	_ZN7rocprim17ROCPRIM_400000_NS6detail17trampoline_kernelINS0_14default_configENS1_22reduce_config_selectorIfEEZNS1_11reduce_implILb1ES3_N6thrust23THRUST_200600_302600_NS11hip_rocprim26transform_input_iterator_tIfNS8_17counting_iteratorIiNS8_11use_defaultESC_SC_EE11estimate_piEEPffNS8_4plusIfEEEE10hipError_tPvRmT1_T2_T3_mT4_P12ihipStream_tbEUlT_E1_NS1_11comp_targetILNS1_3genE9ELNS1_11target_archE1100ELNS1_3gpuE3ELNS1_3repE0EEENS1_30default_config_static_selectorELNS0_4arch9wavefront6targetE0EEEvSM_ ; -- Begin function _ZN7rocprim17ROCPRIM_400000_NS6detail17trampoline_kernelINS0_14default_configENS1_22reduce_config_selectorIfEEZNS1_11reduce_implILb1ES3_N6thrust23THRUST_200600_302600_NS11hip_rocprim26transform_input_iterator_tIfNS8_17counting_iteratorIiNS8_11use_defaultESC_SC_EE11estimate_piEEPffNS8_4plusIfEEEE10hipError_tPvRmT1_T2_T3_mT4_P12ihipStream_tbEUlT_E1_NS1_11comp_targetILNS1_3genE9ELNS1_11target_archE1100ELNS1_3gpuE3ELNS1_3repE0EEENS1_30default_config_static_selectorELNS0_4arch9wavefront6targetE0EEEvSM_
	.globl	_ZN7rocprim17ROCPRIM_400000_NS6detail17trampoline_kernelINS0_14default_configENS1_22reduce_config_selectorIfEEZNS1_11reduce_implILb1ES3_N6thrust23THRUST_200600_302600_NS11hip_rocprim26transform_input_iterator_tIfNS8_17counting_iteratorIiNS8_11use_defaultESC_SC_EE11estimate_piEEPffNS8_4plusIfEEEE10hipError_tPvRmT1_T2_T3_mT4_P12ihipStream_tbEUlT_E1_NS1_11comp_targetILNS1_3genE9ELNS1_11target_archE1100ELNS1_3gpuE3ELNS1_3repE0EEENS1_30default_config_static_selectorELNS0_4arch9wavefront6targetE0EEEvSM_
	.p2align	8
	.type	_ZN7rocprim17ROCPRIM_400000_NS6detail17trampoline_kernelINS0_14default_configENS1_22reduce_config_selectorIfEEZNS1_11reduce_implILb1ES3_N6thrust23THRUST_200600_302600_NS11hip_rocprim26transform_input_iterator_tIfNS8_17counting_iteratorIiNS8_11use_defaultESC_SC_EE11estimate_piEEPffNS8_4plusIfEEEE10hipError_tPvRmT1_T2_T3_mT4_P12ihipStream_tbEUlT_E1_NS1_11comp_targetILNS1_3genE9ELNS1_11target_archE1100ELNS1_3gpuE3ELNS1_3repE0EEENS1_30default_config_static_selectorELNS0_4arch9wavefront6targetE0EEEvSM_,@function
_ZN7rocprim17ROCPRIM_400000_NS6detail17trampoline_kernelINS0_14default_configENS1_22reduce_config_selectorIfEEZNS1_11reduce_implILb1ES3_N6thrust23THRUST_200600_302600_NS11hip_rocprim26transform_input_iterator_tIfNS8_17counting_iteratorIiNS8_11use_defaultESC_SC_EE11estimate_piEEPffNS8_4plusIfEEEE10hipError_tPvRmT1_T2_T3_mT4_P12ihipStream_tbEUlT_E1_NS1_11comp_targetILNS1_3genE9ELNS1_11target_archE1100ELNS1_3gpuE3ELNS1_3repE0EEENS1_30default_config_static_selectorELNS0_4arch9wavefront6targetE0EEEvSM_: ; @_ZN7rocprim17ROCPRIM_400000_NS6detail17trampoline_kernelINS0_14default_configENS1_22reduce_config_selectorIfEEZNS1_11reduce_implILb1ES3_N6thrust23THRUST_200600_302600_NS11hip_rocprim26transform_input_iterator_tIfNS8_17counting_iteratorIiNS8_11use_defaultESC_SC_EE11estimate_piEEPffNS8_4plusIfEEEE10hipError_tPvRmT1_T2_T3_mT4_P12ihipStream_tbEUlT_E1_NS1_11comp_targetILNS1_3genE9ELNS1_11target_archE1100ELNS1_3gpuE3ELNS1_3repE0EEENS1_30default_config_static_selectorELNS0_4arch9wavefront6targetE0EEEvSM_
; %bb.0:
	.section	.rodata,"a",@progbits
	.p2align	6, 0x0
	.amdhsa_kernel _ZN7rocprim17ROCPRIM_400000_NS6detail17trampoline_kernelINS0_14default_configENS1_22reduce_config_selectorIfEEZNS1_11reduce_implILb1ES3_N6thrust23THRUST_200600_302600_NS11hip_rocprim26transform_input_iterator_tIfNS8_17counting_iteratorIiNS8_11use_defaultESC_SC_EE11estimate_piEEPffNS8_4plusIfEEEE10hipError_tPvRmT1_T2_T3_mT4_P12ihipStream_tbEUlT_E1_NS1_11comp_targetILNS1_3genE9ELNS1_11target_archE1100ELNS1_3gpuE3ELNS1_3repE0EEENS1_30default_config_static_selectorELNS0_4arch9wavefront6targetE0EEEvSM_
		.amdhsa_group_segment_fixed_size 0
		.amdhsa_private_segment_fixed_size 0
		.amdhsa_kernarg_size 40
		.amdhsa_user_sgpr_count 2
		.amdhsa_user_sgpr_dispatch_ptr 0
		.amdhsa_user_sgpr_queue_ptr 0
		.amdhsa_user_sgpr_kernarg_segment_ptr 1
		.amdhsa_user_sgpr_dispatch_id 0
		.amdhsa_user_sgpr_kernarg_preload_length 0
		.amdhsa_user_sgpr_kernarg_preload_offset 0
		.amdhsa_user_sgpr_private_segment_size 0
		.amdhsa_wavefront_size32 1
		.amdhsa_uses_dynamic_stack 0
		.amdhsa_enable_private_segment 0
		.amdhsa_system_sgpr_workgroup_id_x 1
		.amdhsa_system_sgpr_workgroup_id_y 0
		.amdhsa_system_sgpr_workgroup_id_z 0
		.amdhsa_system_sgpr_workgroup_info 0
		.amdhsa_system_vgpr_workitem_id 0
		.amdhsa_next_free_vgpr 1
		.amdhsa_next_free_sgpr 1
		.amdhsa_named_barrier_count 0
		.amdhsa_reserve_vcc 0
		.amdhsa_float_round_mode_32 0
		.amdhsa_float_round_mode_16_64 0
		.amdhsa_float_denorm_mode_32 3
		.amdhsa_float_denorm_mode_16_64 3
		.amdhsa_fp16_overflow 0
		.amdhsa_memory_ordered 1
		.amdhsa_forward_progress 1
		.amdhsa_inst_pref_size 0
		.amdhsa_round_robin_scheduling 0
		.amdhsa_exception_fp_ieee_invalid_op 0
		.amdhsa_exception_fp_denorm_src 0
		.amdhsa_exception_fp_ieee_div_zero 0
		.amdhsa_exception_fp_ieee_overflow 0
		.amdhsa_exception_fp_ieee_underflow 0
		.amdhsa_exception_fp_ieee_inexact 0
		.amdhsa_exception_int_div_zero 0
	.end_amdhsa_kernel
	.section	.text._ZN7rocprim17ROCPRIM_400000_NS6detail17trampoline_kernelINS0_14default_configENS1_22reduce_config_selectorIfEEZNS1_11reduce_implILb1ES3_N6thrust23THRUST_200600_302600_NS11hip_rocprim26transform_input_iterator_tIfNS8_17counting_iteratorIiNS8_11use_defaultESC_SC_EE11estimate_piEEPffNS8_4plusIfEEEE10hipError_tPvRmT1_T2_T3_mT4_P12ihipStream_tbEUlT_E1_NS1_11comp_targetILNS1_3genE9ELNS1_11target_archE1100ELNS1_3gpuE3ELNS1_3repE0EEENS1_30default_config_static_selectorELNS0_4arch9wavefront6targetE0EEEvSM_,"axG",@progbits,_ZN7rocprim17ROCPRIM_400000_NS6detail17trampoline_kernelINS0_14default_configENS1_22reduce_config_selectorIfEEZNS1_11reduce_implILb1ES3_N6thrust23THRUST_200600_302600_NS11hip_rocprim26transform_input_iterator_tIfNS8_17counting_iteratorIiNS8_11use_defaultESC_SC_EE11estimate_piEEPffNS8_4plusIfEEEE10hipError_tPvRmT1_T2_T3_mT4_P12ihipStream_tbEUlT_E1_NS1_11comp_targetILNS1_3genE9ELNS1_11target_archE1100ELNS1_3gpuE3ELNS1_3repE0EEENS1_30default_config_static_selectorELNS0_4arch9wavefront6targetE0EEEvSM_,comdat
.Lfunc_end35:
	.size	_ZN7rocprim17ROCPRIM_400000_NS6detail17trampoline_kernelINS0_14default_configENS1_22reduce_config_selectorIfEEZNS1_11reduce_implILb1ES3_N6thrust23THRUST_200600_302600_NS11hip_rocprim26transform_input_iterator_tIfNS8_17counting_iteratorIiNS8_11use_defaultESC_SC_EE11estimate_piEEPffNS8_4plusIfEEEE10hipError_tPvRmT1_T2_T3_mT4_P12ihipStream_tbEUlT_E1_NS1_11comp_targetILNS1_3genE9ELNS1_11target_archE1100ELNS1_3gpuE3ELNS1_3repE0EEENS1_30default_config_static_selectorELNS0_4arch9wavefront6targetE0EEEvSM_, .Lfunc_end35-_ZN7rocprim17ROCPRIM_400000_NS6detail17trampoline_kernelINS0_14default_configENS1_22reduce_config_selectorIfEEZNS1_11reduce_implILb1ES3_N6thrust23THRUST_200600_302600_NS11hip_rocprim26transform_input_iterator_tIfNS8_17counting_iteratorIiNS8_11use_defaultESC_SC_EE11estimate_piEEPffNS8_4plusIfEEEE10hipError_tPvRmT1_T2_T3_mT4_P12ihipStream_tbEUlT_E1_NS1_11comp_targetILNS1_3genE9ELNS1_11target_archE1100ELNS1_3gpuE3ELNS1_3repE0EEENS1_30default_config_static_selectorELNS0_4arch9wavefront6targetE0EEEvSM_
                                        ; -- End function
	.set _ZN7rocprim17ROCPRIM_400000_NS6detail17trampoline_kernelINS0_14default_configENS1_22reduce_config_selectorIfEEZNS1_11reduce_implILb1ES3_N6thrust23THRUST_200600_302600_NS11hip_rocprim26transform_input_iterator_tIfNS8_17counting_iteratorIiNS8_11use_defaultESC_SC_EE11estimate_piEEPffNS8_4plusIfEEEE10hipError_tPvRmT1_T2_T3_mT4_P12ihipStream_tbEUlT_E1_NS1_11comp_targetILNS1_3genE9ELNS1_11target_archE1100ELNS1_3gpuE3ELNS1_3repE0EEENS1_30default_config_static_selectorELNS0_4arch9wavefront6targetE0EEEvSM_.num_vgpr, 0
	.set _ZN7rocprim17ROCPRIM_400000_NS6detail17trampoline_kernelINS0_14default_configENS1_22reduce_config_selectorIfEEZNS1_11reduce_implILb1ES3_N6thrust23THRUST_200600_302600_NS11hip_rocprim26transform_input_iterator_tIfNS8_17counting_iteratorIiNS8_11use_defaultESC_SC_EE11estimate_piEEPffNS8_4plusIfEEEE10hipError_tPvRmT1_T2_T3_mT4_P12ihipStream_tbEUlT_E1_NS1_11comp_targetILNS1_3genE9ELNS1_11target_archE1100ELNS1_3gpuE3ELNS1_3repE0EEENS1_30default_config_static_selectorELNS0_4arch9wavefront6targetE0EEEvSM_.num_agpr, 0
	.set _ZN7rocprim17ROCPRIM_400000_NS6detail17trampoline_kernelINS0_14default_configENS1_22reduce_config_selectorIfEEZNS1_11reduce_implILb1ES3_N6thrust23THRUST_200600_302600_NS11hip_rocprim26transform_input_iterator_tIfNS8_17counting_iteratorIiNS8_11use_defaultESC_SC_EE11estimate_piEEPffNS8_4plusIfEEEE10hipError_tPvRmT1_T2_T3_mT4_P12ihipStream_tbEUlT_E1_NS1_11comp_targetILNS1_3genE9ELNS1_11target_archE1100ELNS1_3gpuE3ELNS1_3repE0EEENS1_30default_config_static_selectorELNS0_4arch9wavefront6targetE0EEEvSM_.numbered_sgpr, 0
	.set _ZN7rocprim17ROCPRIM_400000_NS6detail17trampoline_kernelINS0_14default_configENS1_22reduce_config_selectorIfEEZNS1_11reduce_implILb1ES3_N6thrust23THRUST_200600_302600_NS11hip_rocprim26transform_input_iterator_tIfNS8_17counting_iteratorIiNS8_11use_defaultESC_SC_EE11estimate_piEEPffNS8_4plusIfEEEE10hipError_tPvRmT1_T2_T3_mT4_P12ihipStream_tbEUlT_E1_NS1_11comp_targetILNS1_3genE9ELNS1_11target_archE1100ELNS1_3gpuE3ELNS1_3repE0EEENS1_30default_config_static_selectorELNS0_4arch9wavefront6targetE0EEEvSM_.num_named_barrier, 0
	.set _ZN7rocprim17ROCPRIM_400000_NS6detail17trampoline_kernelINS0_14default_configENS1_22reduce_config_selectorIfEEZNS1_11reduce_implILb1ES3_N6thrust23THRUST_200600_302600_NS11hip_rocprim26transform_input_iterator_tIfNS8_17counting_iteratorIiNS8_11use_defaultESC_SC_EE11estimate_piEEPffNS8_4plusIfEEEE10hipError_tPvRmT1_T2_T3_mT4_P12ihipStream_tbEUlT_E1_NS1_11comp_targetILNS1_3genE9ELNS1_11target_archE1100ELNS1_3gpuE3ELNS1_3repE0EEENS1_30default_config_static_selectorELNS0_4arch9wavefront6targetE0EEEvSM_.private_seg_size, 0
	.set _ZN7rocprim17ROCPRIM_400000_NS6detail17trampoline_kernelINS0_14default_configENS1_22reduce_config_selectorIfEEZNS1_11reduce_implILb1ES3_N6thrust23THRUST_200600_302600_NS11hip_rocprim26transform_input_iterator_tIfNS8_17counting_iteratorIiNS8_11use_defaultESC_SC_EE11estimate_piEEPffNS8_4plusIfEEEE10hipError_tPvRmT1_T2_T3_mT4_P12ihipStream_tbEUlT_E1_NS1_11comp_targetILNS1_3genE9ELNS1_11target_archE1100ELNS1_3gpuE3ELNS1_3repE0EEENS1_30default_config_static_selectorELNS0_4arch9wavefront6targetE0EEEvSM_.uses_vcc, 0
	.set _ZN7rocprim17ROCPRIM_400000_NS6detail17trampoline_kernelINS0_14default_configENS1_22reduce_config_selectorIfEEZNS1_11reduce_implILb1ES3_N6thrust23THRUST_200600_302600_NS11hip_rocprim26transform_input_iterator_tIfNS8_17counting_iteratorIiNS8_11use_defaultESC_SC_EE11estimate_piEEPffNS8_4plusIfEEEE10hipError_tPvRmT1_T2_T3_mT4_P12ihipStream_tbEUlT_E1_NS1_11comp_targetILNS1_3genE9ELNS1_11target_archE1100ELNS1_3gpuE3ELNS1_3repE0EEENS1_30default_config_static_selectorELNS0_4arch9wavefront6targetE0EEEvSM_.uses_flat_scratch, 0
	.set _ZN7rocprim17ROCPRIM_400000_NS6detail17trampoline_kernelINS0_14default_configENS1_22reduce_config_selectorIfEEZNS1_11reduce_implILb1ES3_N6thrust23THRUST_200600_302600_NS11hip_rocprim26transform_input_iterator_tIfNS8_17counting_iteratorIiNS8_11use_defaultESC_SC_EE11estimate_piEEPffNS8_4plusIfEEEE10hipError_tPvRmT1_T2_T3_mT4_P12ihipStream_tbEUlT_E1_NS1_11comp_targetILNS1_3genE9ELNS1_11target_archE1100ELNS1_3gpuE3ELNS1_3repE0EEENS1_30default_config_static_selectorELNS0_4arch9wavefront6targetE0EEEvSM_.has_dyn_sized_stack, 0
	.set _ZN7rocprim17ROCPRIM_400000_NS6detail17trampoline_kernelINS0_14default_configENS1_22reduce_config_selectorIfEEZNS1_11reduce_implILb1ES3_N6thrust23THRUST_200600_302600_NS11hip_rocprim26transform_input_iterator_tIfNS8_17counting_iteratorIiNS8_11use_defaultESC_SC_EE11estimate_piEEPffNS8_4plusIfEEEE10hipError_tPvRmT1_T2_T3_mT4_P12ihipStream_tbEUlT_E1_NS1_11comp_targetILNS1_3genE9ELNS1_11target_archE1100ELNS1_3gpuE3ELNS1_3repE0EEENS1_30default_config_static_selectorELNS0_4arch9wavefront6targetE0EEEvSM_.has_recursion, 0
	.set _ZN7rocprim17ROCPRIM_400000_NS6detail17trampoline_kernelINS0_14default_configENS1_22reduce_config_selectorIfEEZNS1_11reduce_implILb1ES3_N6thrust23THRUST_200600_302600_NS11hip_rocprim26transform_input_iterator_tIfNS8_17counting_iteratorIiNS8_11use_defaultESC_SC_EE11estimate_piEEPffNS8_4plusIfEEEE10hipError_tPvRmT1_T2_T3_mT4_P12ihipStream_tbEUlT_E1_NS1_11comp_targetILNS1_3genE9ELNS1_11target_archE1100ELNS1_3gpuE3ELNS1_3repE0EEENS1_30default_config_static_selectorELNS0_4arch9wavefront6targetE0EEEvSM_.has_indirect_call, 0
	.section	.AMDGPU.csdata,"",@progbits
; Kernel info:
; codeLenInByte = 0
; TotalNumSgprs: 0
; NumVgprs: 0
; ScratchSize: 0
; MemoryBound: 0
; FloatMode: 240
; IeeeMode: 1
; LDSByteSize: 0 bytes/workgroup (compile time only)
; SGPRBlocks: 0
; VGPRBlocks: 0
; NumSGPRsForWavesPerEU: 1
; NumVGPRsForWavesPerEU: 1
; NamedBarCnt: 0
; Occupancy: 16
; WaveLimiterHint : 0
; COMPUTE_PGM_RSRC2:SCRATCH_EN: 0
; COMPUTE_PGM_RSRC2:USER_SGPR: 2
; COMPUTE_PGM_RSRC2:TRAP_HANDLER: 0
; COMPUTE_PGM_RSRC2:TGID_X_EN: 1
; COMPUTE_PGM_RSRC2:TGID_Y_EN: 0
; COMPUTE_PGM_RSRC2:TGID_Z_EN: 0
; COMPUTE_PGM_RSRC2:TIDIG_COMP_CNT: 0
	.section	.text._ZN7rocprim17ROCPRIM_400000_NS6detail17trampoline_kernelINS0_14default_configENS1_22reduce_config_selectorIfEEZNS1_11reduce_implILb1ES3_N6thrust23THRUST_200600_302600_NS11hip_rocprim26transform_input_iterator_tIfNS8_17counting_iteratorIiNS8_11use_defaultESC_SC_EE11estimate_piEEPffNS8_4plusIfEEEE10hipError_tPvRmT1_T2_T3_mT4_P12ihipStream_tbEUlT_E1_NS1_11comp_targetILNS1_3genE8ELNS1_11target_archE1030ELNS1_3gpuE2ELNS1_3repE0EEENS1_30default_config_static_selectorELNS0_4arch9wavefront6targetE0EEEvSM_,"axG",@progbits,_ZN7rocprim17ROCPRIM_400000_NS6detail17trampoline_kernelINS0_14default_configENS1_22reduce_config_selectorIfEEZNS1_11reduce_implILb1ES3_N6thrust23THRUST_200600_302600_NS11hip_rocprim26transform_input_iterator_tIfNS8_17counting_iteratorIiNS8_11use_defaultESC_SC_EE11estimate_piEEPffNS8_4plusIfEEEE10hipError_tPvRmT1_T2_T3_mT4_P12ihipStream_tbEUlT_E1_NS1_11comp_targetILNS1_3genE8ELNS1_11target_archE1030ELNS1_3gpuE2ELNS1_3repE0EEENS1_30default_config_static_selectorELNS0_4arch9wavefront6targetE0EEEvSM_,comdat
	.protected	_ZN7rocprim17ROCPRIM_400000_NS6detail17trampoline_kernelINS0_14default_configENS1_22reduce_config_selectorIfEEZNS1_11reduce_implILb1ES3_N6thrust23THRUST_200600_302600_NS11hip_rocprim26transform_input_iterator_tIfNS8_17counting_iteratorIiNS8_11use_defaultESC_SC_EE11estimate_piEEPffNS8_4plusIfEEEE10hipError_tPvRmT1_T2_T3_mT4_P12ihipStream_tbEUlT_E1_NS1_11comp_targetILNS1_3genE8ELNS1_11target_archE1030ELNS1_3gpuE2ELNS1_3repE0EEENS1_30default_config_static_selectorELNS0_4arch9wavefront6targetE0EEEvSM_ ; -- Begin function _ZN7rocprim17ROCPRIM_400000_NS6detail17trampoline_kernelINS0_14default_configENS1_22reduce_config_selectorIfEEZNS1_11reduce_implILb1ES3_N6thrust23THRUST_200600_302600_NS11hip_rocprim26transform_input_iterator_tIfNS8_17counting_iteratorIiNS8_11use_defaultESC_SC_EE11estimate_piEEPffNS8_4plusIfEEEE10hipError_tPvRmT1_T2_T3_mT4_P12ihipStream_tbEUlT_E1_NS1_11comp_targetILNS1_3genE8ELNS1_11target_archE1030ELNS1_3gpuE2ELNS1_3repE0EEENS1_30default_config_static_selectorELNS0_4arch9wavefront6targetE0EEEvSM_
	.globl	_ZN7rocprim17ROCPRIM_400000_NS6detail17trampoline_kernelINS0_14default_configENS1_22reduce_config_selectorIfEEZNS1_11reduce_implILb1ES3_N6thrust23THRUST_200600_302600_NS11hip_rocprim26transform_input_iterator_tIfNS8_17counting_iteratorIiNS8_11use_defaultESC_SC_EE11estimate_piEEPffNS8_4plusIfEEEE10hipError_tPvRmT1_T2_T3_mT4_P12ihipStream_tbEUlT_E1_NS1_11comp_targetILNS1_3genE8ELNS1_11target_archE1030ELNS1_3gpuE2ELNS1_3repE0EEENS1_30default_config_static_selectorELNS0_4arch9wavefront6targetE0EEEvSM_
	.p2align	8
	.type	_ZN7rocprim17ROCPRIM_400000_NS6detail17trampoline_kernelINS0_14default_configENS1_22reduce_config_selectorIfEEZNS1_11reduce_implILb1ES3_N6thrust23THRUST_200600_302600_NS11hip_rocprim26transform_input_iterator_tIfNS8_17counting_iteratorIiNS8_11use_defaultESC_SC_EE11estimate_piEEPffNS8_4plusIfEEEE10hipError_tPvRmT1_T2_T3_mT4_P12ihipStream_tbEUlT_E1_NS1_11comp_targetILNS1_3genE8ELNS1_11target_archE1030ELNS1_3gpuE2ELNS1_3repE0EEENS1_30default_config_static_selectorELNS0_4arch9wavefront6targetE0EEEvSM_,@function
_ZN7rocprim17ROCPRIM_400000_NS6detail17trampoline_kernelINS0_14default_configENS1_22reduce_config_selectorIfEEZNS1_11reduce_implILb1ES3_N6thrust23THRUST_200600_302600_NS11hip_rocprim26transform_input_iterator_tIfNS8_17counting_iteratorIiNS8_11use_defaultESC_SC_EE11estimate_piEEPffNS8_4plusIfEEEE10hipError_tPvRmT1_T2_T3_mT4_P12ihipStream_tbEUlT_E1_NS1_11comp_targetILNS1_3genE8ELNS1_11target_archE1030ELNS1_3gpuE2ELNS1_3repE0EEENS1_30default_config_static_selectorELNS0_4arch9wavefront6targetE0EEEvSM_: ; @_ZN7rocprim17ROCPRIM_400000_NS6detail17trampoline_kernelINS0_14default_configENS1_22reduce_config_selectorIfEEZNS1_11reduce_implILb1ES3_N6thrust23THRUST_200600_302600_NS11hip_rocprim26transform_input_iterator_tIfNS8_17counting_iteratorIiNS8_11use_defaultESC_SC_EE11estimate_piEEPffNS8_4plusIfEEEE10hipError_tPvRmT1_T2_T3_mT4_P12ihipStream_tbEUlT_E1_NS1_11comp_targetILNS1_3genE8ELNS1_11target_archE1030ELNS1_3gpuE2ELNS1_3repE0EEENS1_30default_config_static_selectorELNS0_4arch9wavefront6targetE0EEEvSM_
; %bb.0:
	.section	.rodata,"a",@progbits
	.p2align	6, 0x0
	.amdhsa_kernel _ZN7rocprim17ROCPRIM_400000_NS6detail17trampoline_kernelINS0_14default_configENS1_22reduce_config_selectorIfEEZNS1_11reduce_implILb1ES3_N6thrust23THRUST_200600_302600_NS11hip_rocprim26transform_input_iterator_tIfNS8_17counting_iteratorIiNS8_11use_defaultESC_SC_EE11estimate_piEEPffNS8_4plusIfEEEE10hipError_tPvRmT1_T2_T3_mT4_P12ihipStream_tbEUlT_E1_NS1_11comp_targetILNS1_3genE8ELNS1_11target_archE1030ELNS1_3gpuE2ELNS1_3repE0EEENS1_30default_config_static_selectorELNS0_4arch9wavefront6targetE0EEEvSM_
		.amdhsa_group_segment_fixed_size 0
		.amdhsa_private_segment_fixed_size 0
		.amdhsa_kernarg_size 40
		.amdhsa_user_sgpr_count 2
		.amdhsa_user_sgpr_dispatch_ptr 0
		.amdhsa_user_sgpr_queue_ptr 0
		.amdhsa_user_sgpr_kernarg_segment_ptr 1
		.amdhsa_user_sgpr_dispatch_id 0
		.amdhsa_user_sgpr_kernarg_preload_length 0
		.amdhsa_user_sgpr_kernarg_preload_offset 0
		.amdhsa_user_sgpr_private_segment_size 0
		.amdhsa_wavefront_size32 1
		.amdhsa_uses_dynamic_stack 0
		.amdhsa_enable_private_segment 0
		.amdhsa_system_sgpr_workgroup_id_x 1
		.amdhsa_system_sgpr_workgroup_id_y 0
		.amdhsa_system_sgpr_workgroup_id_z 0
		.amdhsa_system_sgpr_workgroup_info 0
		.amdhsa_system_vgpr_workitem_id 0
		.amdhsa_next_free_vgpr 1
		.amdhsa_next_free_sgpr 1
		.amdhsa_named_barrier_count 0
		.amdhsa_reserve_vcc 0
		.amdhsa_float_round_mode_32 0
		.amdhsa_float_round_mode_16_64 0
		.amdhsa_float_denorm_mode_32 3
		.amdhsa_float_denorm_mode_16_64 3
		.amdhsa_fp16_overflow 0
		.amdhsa_memory_ordered 1
		.amdhsa_forward_progress 1
		.amdhsa_inst_pref_size 0
		.amdhsa_round_robin_scheduling 0
		.amdhsa_exception_fp_ieee_invalid_op 0
		.amdhsa_exception_fp_denorm_src 0
		.amdhsa_exception_fp_ieee_div_zero 0
		.amdhsa_exception_fp_ieee_overflow 0
		.amdhsa_exception_fp_ieee_underflow 0
		.amdhsa_exception_fp_ieee_inexact 0
		.amdhsa_exception_int_div_zero 0
	.end_amdhsa_kernel
	.section	.text._ZN7rocprim17ROCPRIM_400000_NS6detail17trampoline_kernelINS0_14default_configENS1_22reduce_config_selectorIfEEZNS1_11reduce_implILb1ES3_N6thrust23THRUST_200600_302600_NS11hip_rocprim26transform_input_iterator_tIfNS8_17counting_iteratorIiNS8_11use_defaultESC_SC_EE11estimate_piEEPffNS8_4plusIfEEEE10hipError_tPvRmT1_T2_T3_mT4_P12ihipStream_tbEUlT_E1_NS1_11comp_targetILNS1_3genE8ELNS1_11target_archE1030ELNS1_3gpuE2ELNS1_3repE0EEENS1_30default_config_static_selectorELNS0_4arch9wavefront6targetE0EEEvSM_,"axG",@progbits,_ZN7rocprim17ROCPRIM_400000_NS6detail17trampoline_kernelINS0_14default_configENS1_22reduce_config_selectorIfEEZNS1_11reduce_implILb1ES3_N6thrust23THRUST_200600_302600_NS11hip_rocprim26transform_input_iterator_tIfNS8_17counting_iteratorIiNS8_11use_defaultESC_SC_EE11estimate_piEEPffNS8_4plusIfEEEE10hipError_tPvRmT1_T2_T3_mT4_P12ihipStream_tbEUlT_E1_NS1_11comp_targetILNS1_3genE8ELNS1_11target_archE1030ELNS1_3gpuE2ELNS1_3repE0EEENS1_30default_config_static_selectorELNS0_4arch9wavefront6targetE0EEEvSM_,comdat
.Lfunc_end36:
	.size	_ZN7rocprim17ROCPRIM_400000_NS6detail17trampoline_kernelINS0_14default_configENS1_22reduce_config_selectorIfEEZNS1_11reduce_implILb1ES3_N6thrust23THRUST_200600_302600_NS11hip_rocprim26transform_input_iterator_tIfNS8_17counting_iteratorIiNS8_11use_defaultESC_SC_EE11estimate_piEEPffNS8_4plusIfEEEE10hipError_tPvRmT1_T2_T3_mT4_P12ihipStream_tbEUlT_E1_NS1_11comp_targetILNS1_3genE8ELNS1_11target_archE1030ELNS1_3gpuE2ELNS1_3repE0EEENS1_30default_config_static_selectorELNS0_4arch9wavefront6targetE0EEEvSM_, .Lfunc_end36-_ZN7rocprim17ROCPRIM_400000_NS6detail17trampoline_kernelINS0_14default_configENS1_22reduce_config_selectorIfEEZNS1_11reduce_implILb1ES3_N6thrust23THRUST_200600_302600_NS11hip_rocprim26transform_input_iterator_tIfNS8_17counting_iteratorIiNS8_11use_defaultESC_SC_EE11estimate_piEEPffNS8_4plusIfEEEE10hipError_tPvRmT1_T2_T3_mT4_P12ihipStream_tbEUlT_E1_NS1_11comp_targetILNS1_3genE8ELNS1_11target_archE1030ELNS1_3gpuE2ELNS1_3repE0EEENS1_30default_config_static_selectorELNS0_4arch9wavefront6targetE0EEEvSM_
                                        ; -- End function
	.set _ZN7rocprim17ROCPRIM_400000_NS6detail17trampoline_kernelINS0_14default_configENS1_22reduce_config_selectorIfEEZNS1_11reduce_implILb1ES3_N6thrust23THRUST_200600_302600_NS11hip_rocprim26transform_input_iterator_tIfNS8_17counting_iteratorIiNS8_11use_defaultESC_SC_EE11estimate_piEEPffNS8_4plusIfEEEE10hipError_tPvRmT1_T2_T3_mT4_P12ihipStream_tbEUlT_E1_NS1_11comp_targetILNS1_3genE8ELNS1_11target_archE1030ELNS1_3gpuE2ELNS1_3repE0EEENS1_30default_config_static_selectorELNS0_4arch9wavefront6targetE0EEEvSM_.num_vgpr, 0
	.set _ZN7rocprim17ROCPRIM_400000_NS6detail17trampoline_kernelINS0_14default_configENS1_22reduce_config_selectorIfEEZNS1_11reduce_implILb1ES3_N6thrust23THRUST_200600_302600_NS11hip_rocprim26transform_input_iterator_tIfNS8_17counting_iteratorIiNS8_11use_defaultESC_SC_EE11estimate_piEEPffNS8_4plusIfEEEE10hipError_tPvRmT1_T2_T3_mT4_P12ihipStream_tbEUlT_E1_NS1_11comp_targetILNS1_3genE8ELNS1_11target_archE1030ELNS1_3gpuE2ELNS1_3repE0EEENS1_30default_config_static_selectorELNS0_4arch9wavefront6targetE0EEEvSM_.num_agpr, 0
	.set _ZN7rocprim17ROCPRIM_400000_NS6detail17trampoline_kernelINS0_14default_configENS1_22reduce_config_selectorIfEEZNS1_11reduce_implILb1ES3_N6thrust23THRUST_200600_302600_NS11hip_rocprim26transform_input_iterator_tIfNS8_17counting_iteratorIiNS8_11use_defaultESC_SC_EE11estimate_piEEPffNS8_4plusIfEEEE10hipError_tPvRmT1_T2_T3_mT4_P12ihipStream_tbEUlT_E1_NS1_11comp_targetILNS1_3genE8ELNS1_11target_archE1030ELNS1_3gpuE2ELNS1_3repE0EEENS1_30default_config_static_selectorELNS0_4arch9wavefront6targetE0EEEvSM_.numbered_sgpr, 0
	.set _ZN7rocprim17ROCPRIM_400000_NS6detail17trampoline_kernelINS0_14default_configENS1_22reduce_config_selectorIfEEZNS1_11reduce_implILb1ES3_N6thrust23THRUST_200600_302600_NS11hip_rocprim26transform_input_iterator_tIfNS8_17counting_iteratorIiNS8_11use_defaultESC_SC_EE11estimate_piEEPffNS8_4plusIfEEEE10hipError_tPvRmT1_T2_T3_mT4_P12ihipStream_tbEUlT_E1_NS1_11comp_targetILNS1_3genE8ELNS1_11target_archE1030ELNS1_3gpuE2ELNS1_3repE0EEENS1_30default_config_static_selectorELNS0_4arch9wavefront6targetE0EEEvSM_.num_named_barrier, 0
	.set _ZN7rocprim17ROCPRIM_400000_NS6detail17trampoline_kernelINS0_14default_configENS1_22reduce_config_selectorIfEEZNS1_11reduce_implILb1ES3_N6thrust23THRUST_200600_302600_NS11hip_rocprim26transform_input_iterator_tIfNS8_17counting_iteratorIiNS8_11use_defaultESC_SC_EE11estimate_piEEPffNS8_4plusIfEEEE10hipError_tPvRmT1_T2_T3_mT4_P12ihipStream_tbEUlT_E1_NS1_11comp_targetILNS1_3genE8ELNS1_11target_archE1030ELNS1_3gpuE2ELNS1_3repE0EEENS1_30default_config_static_selectorELNS0_4arch9wavefront6targetE0EEEvSM_.private_seg_size, 0
	.set _ZN7rocprim17ROCPRIM_400000_NS6detail17trampoline_kernelINS0_14default_configENS1_22reduce_config_selectorIfEEZNS1_11reduce_implILb1ES3_N6thrust23THRUST_200600_302600_NS11hip_rocprim26transform_input_iterator_tIfNS8_17counting_iteratorIiNS8_11use_defaultESC_SC_EE11estimate_piEEPffNS8_4plusIfEEEE10hipError_tPvRmT1_T2_T3_mT4_P12ihipStream_tbEUlT_E1_NS1_11comp_targetILNS1_3genE8ELNS1_11target_archE1030ELNS1_3gpuE2ELNS1_3repE0EEENS1_30default_config_static_selectorELNS0_4arch9wavefront6targetE0EEEvSM_.uses_vcc, 0
	.set _ZN7rocprim17ROCPRIM_400000_NS6detail17trampoline_kernelINS0_14default_configENS1_22reduce_config_selectorIfEEZNS1_11reduce_implILb1ES3_N6thrust23THRUST_200600_302600_NS11hip_rocprim26transform_input_iterator_tIfNS8_17counting_iteratorIiNS8_11use_defaultESC_SC_EE11estimate_piEEPffNS8_4plusIfEEEE10hipError_tPvRmT1_T2_T3_mT4_P12ihipStream_tbEUlT_E1_NS1_11comp_targetILNS1_3genE8ELNS1_11target_archE1030ELNS1_3gpuE2ELNS1_3repE0EEENS1_30default_config_static_selectorELNS0_4arch9wavefront6targetE0EEEvSM_.uses_flat_scratch, 0
	.set _ZN7rocprim17ROCPRIM_400000_NS6detail17trampoline_kernelINS0_14default_configENS1_22reduce_config_selectorIfEEZNS1_11reduce_implILb1ES3_N6thrust23THRUST_200600_302600_NS11hip_rocprim26transform_input_iterator_tIfNS8_17counting_iteratorIiNS8_11use_defaultESC_SC_EE11estimate_piEEPffNS8_4plusIfEEEE10hipError_tPvRmT1_T2_T3_mT4_P12ihipStream_tbEUlT_E1_NS1_11comp_targetILNS1_3genE8ELNS1_11target_archE1030ELNS1_3gpuE2ELNS1_3repE0EEENS1_30default_config_static_selectorELNS0_4arch9wavefront6targetE0EEEvSM_.has_dyn_sized_stack, 0
	.set _ZN7rocprim17ROCPRIM_400000_NS6detail17trampoline_kernelINS0_14default_configENS1_22reduce_config_selectorIfEEZNS1_11reduce_implILb1ES3_N6thrust23THRUST_200600_302600_NS11hip_rocprim26transform_input_iterator_tIfNS8_17counting_iteratorIiNS8_11use_defaultESC_SC_EE11estimate_piEEPffNS8_4plusIfEEEE10hipError_tPvRmT1_T2_T3_mT4_P12ihipStream_tbEUlT_E1_NS1_11comp_targetILNS1_3genE8ELNS1_11target_archE1030ELNS1_3gpuE2ELNS1_3repE0EEENS1_30default_config_static_selectorELNS0_4arch9wavefront6targetE0EEEvSM_.has_recursion, 0
	.set _ZN7rocprim17ROCPRIM_400000_NS6detail17trampoline_kernelINS0_14default_configENS1_22reduce_config_selectorIfEEZNS1_11reduce_implILb1ES3_N6thrust23THRUST_200600_302600_NS11hip_rocprim26transform_input_iterator_tIfNS8_17counting_iteratorIiNS8_11use_defaultESC_SC_EE11estimate_piEEPffNS8_4plusIfEEEE10hipError_tPvRmT1_T2_T3_mT4_P12ihipStream_tbEUlT_E1_NS1_11comp_targetILNS1_3genE8ELNS1_11target_archE1030ELNS1_3gpuE2ELNS1_3repE0EEENS1_30default_config_static_selectorELNS0_4arch9wavefront6targetE0EEEvSM_.has_indirect_call, 0
	.section	.AMDGPU.csdata,"",@progbits
; Kernel info:
; codeLenInByte = 0
; TotalNumSgprs: 0
; NumVgprs: 0
; ScratchSize: 0
; MemoryBound: 0
; FloatMode: 240
; IeeeMode: 1
; LDSByteSize: 0 bytes/workgroup (compile time only)
; SGPRBlocks: 0
; VGPRBlocks: 0
; NumSGPRsForWavesPerEU: 1
; NumVGPRsForWavesPerEU: 1
; NamedBarCnt: 0
; Occupancy: 16
; WaveLimiterHint : 0
; COMPUTE_PGM_RSRC2:SCRATCH_EN: 0
; COMPUTE_PGM_RSRC2:USER_SGPR: 2
; COMPUTE_PGM_RSRC2:TRAP_HANDLER: 0
; COMPUTE_PGM_RSRC2:TGID_X_EN: 1
; COMPUTE_PGM_RSRC2:TGID_Y_EN: 0
; COMPUTE_PGM_RSRC2:TGID_Z_EN: 0
; COMPUTE_PGM_RSRC2:TIDIG_COMP_CNT: 0
	.text
	.p2alignl 7, 3214868480
	.fill 96, 4, 3214868480
	.section	.AMDGPU.gpr_maximums,"",@progbits
	.set amdgpu.max_num_vgpr, 71
	.set amdgpu.max_num_agpr, 0
	.set amdgpu.max_num_sgpr, 92
	.text
	.type	__hip_cuid_b836bd9828be3bfa,@object ; @__hip_cuid_b836bd9828be3bfa
	.section	.bss,"aw",@nobits
	.globl	__hip_cuid_b836bd9828be3bfa
__hip_cuid_b836bd9828be3bfa:
	.byte	0                               ; 0x0
	.size	__hip_cuid_b836bd9828be3bfa, 1

	.ident	"AMD clang version 22.0.0git (https://github.com/RadeonOpenCompute/llvm-project roc-7.2.4 26084 f58b06dce1f9c15707c5f808fd002e18c2accf7e)"
	.section	".note.GNU-stack","",@progbits
	.addrsig
	.addrsig_sym __hip_cuid_b836bd9828be3bfa
	.amdgpu_metadata
---
amdhsa.kernels:
  - .args:
      - .offset:         0
        .size:           56
        .value_kind:     by_value
    .group_segment_fixed_size: 64
    .kernarg_segment_align: 8
    .kernarg_segment_size: 56
    .language:       OpenCL C
    .language_version:
      - 2
      - 0
    .max_flat_workgroup_size: 256
    .name:           _ZN7rocprim17ROCPRIM_400000_NS6detail17trampoline_kernelINS0_14default_configENS1_22reduce_config_selectorIfEEZNS1_11reduce_implILb1ES3_PfS7_fN6thrust23THRUST_200600_302600_NS4plusIfEEEE10hipError_tPvRmT1_T2_T3_mT4_P12ihipStream_tbEUlT_E0_NS1_11comp_targetILNS1_3genE0ELNS1_11target_archE4294967295ELNS1_3gpuE0ELNS1_3repE0EEENS1_30default_config_static_selectorELNS0_4arch9wavefront6targetE0EEEvSF_
    .private_segment_fixed_size: 0
    .sgpr_count:     22
    .sgpr_spill_count: 0
    .symbol:         _ZN7rocprim17ROCPRIM_400000_NS6detail17trampoline_kernelINS0_14default_configENS1_22reduce_config_selectorIfEEZNS1_11reduce_implILb1ES3_PfS7_fN6thrust23THRUST_200600_302600_NS4plusIfEEEE10hipError_tPvRmT1_T2_T3_mT4_P12ihipStream_tbEUlT_E0_NS1_11comp_targetILNS1_3genE0ELNS1_11target_archE4294967295ELNS1_3gpuE0ELNS1_3repE0EEENS1_30default_config_static_selectorELNS0_4arch9wavefront6targetE0EEEvSF_.kd
    .uniform_work_group_size: 1
    .uses_dynamic_stack: false
    .vgpr_count:     9
    .vgpr_spill_count: 0
    .wavefront_size: 32
  - .args:
      - .offset:         0
        .size:           56
        .value_kind:     by_value
    .group_segment_fixed_size: 0
    .kernarg_segment_align: 8
    .kernarg_segment_size: 56
    .language:       OpenCL C
    .language_version:
      - 2
      - 0
    .max_flat_workgroup_size: 128
    .name:           _ZN7rocprim17ROCPRIM_400000_NS6detail17trampoline_kernelINS0_14default_configENS1_22reduce_config_selectorIfEEZNS1_11reduce_implILb1ES3_PfS7_fN6thrust23THRUST_200600_302600_NS4plusIfEEEE10hipError_tPvRmT1_T2_T3_mT4_P12ihipStream_tbEUlT_E0_NS1_11comp_targetILNS1_3genE5ELNS1_11target_archE942ELNS1_3gpuE9ELNS1_3repE0EEENS1_30default_config_static_selectorELNS0_4arch9wavefront6targetE0EEEvSF_
    .private_segment_fixed_size: 0
    .sgpr_count:     0
    .sgpr_spill_count: 0
    .symbol:         _ZN7rocprim17ROCPRIM_400000_NS6detail17trampoline_kernelINS0_14default_configENS1_22reduce_config_selectorIfEEZNS1_11reduce_implILb1ES3_PfS7_fN6thrust23THRUST_200600_302600_NS4plusIfEEEE10hipError_tPvRmT1_T2_T3_mT4_P12ihipStream_tbEUlT_E0_NS1_11comp_targetILNS1_3genE5ELNS1_11target_archE942ELNS1_3gpuE9ELNS1_3repE0EEENS1_30default_config_static_selectorELNS0_4arch9wavefront6targetE0EEEvSF_.kd
    .uniform_work_group_size: 1
    .uses_dynamic_stack: false
    .vgpr_count:     0
    .vgpr_spill_count: 0
    .wavefront_size: 32
  - .args:
      - .offset:         0
        .size:           56
        .value_kind:     by_value
    .group_segment_fixed_size: 0
    .kernarg_segment_align: 8
    .kernarg_segment_size: 56
    .language:       OpenCL C
    .language_version:
      - 2
      - 0
    .max_flat_workgroup_size: 128
    .name:           _ZN7rocprim17ROCPRIM_400000_NS6detail17trampoline_kernelINS0_14default_configENS1_22reduce_config_selectorIfEEZNS1_11reduce_implILb1ES3_PfS7_fN6thrust23THRUST_200600_302600_NS4plusIfEEEE10hipError_tPvRmT1_T2_T3_mT4_P12ihipStream_tbEUlT_E0_NS1_11comp_targetILNS1_3genE4ELNS1_11target_archE910ELNS1_3gpuE8ELNS1_3repE0EEENS1_30default_config_static_selectorELNS0_4arch9wavefront6targetE0EEEvSF_
    .private_segment_fixed_size: 0
    .sgpr_count:     0
    .sgpr_spill_count: 0
    .symbol:         _ZN7rocprim17ROCPRIM_400000_NS6detail17trampoline_kernelINS0_14default_configENS1_22reduce_config_selectorIfEEZNS1_11reduce_implILb1ES3_PfS7_fN6thrust23THRUST_200600_302600_NS4plusIfEEEE10hipError_tPvRmT1_T2_T3_mT4_P12ihipStream_tbEUlT_E0_NS1_11comp_targetILNS1_3genE4ELNS1_11target_archE910ELNS1_3gpuE8ELNS1_3repE0EEENS1_30default_config_static_selectorELNS0_4arch9wavefront6targetE0EEEvSF_.kd
    .uniform_work_group_size: 1
    .uses_dynamic_stack: false
    .vgpr_count:     0
    .vgpr_spill_count: 0
    .wavefront_size: 32
  - .args:
      - .offset:         0
        .size:           56
        .value_kind:     by_value
    .group_segment_fixed_size: 0
    .kernarg_segment_align: 8
    .kernarg_segment_size: 56
    .language:       OpenCL C
    .language_version:
      - 2
      - 0
    .max_flat_workgroup_size: 256
    .name:           _ZN7rocprim17ROCPRIM_400000_NS6detail17trampoline_kernelINS0_14default_configENS1_22reduce_config_selectorIfEEZNS1_11reduce_implILb1ES3_PfS7_fN6thrust23THRUST_200600_302600_NS4plusIfEEEE10hipError_tPvRmT1_T2_T3_mT4_P12ihipStream_tbEUlT_E0_NS1_11comp_targetILNS1_3genE3ELNS1_11target_archE908ELNS1_3gpuE7ELNS1_3repE0EEENS1_30default_config_static_selectorELNS0_4arch9wavefront6targetE0EEEvSF_
    .private_segment_fixed_size: 0
    .sgpr_count:     0
    .sgpr_spill_count: 0
    .symbol:         _ZN7rocprim17ROCPRIM_400000_NS6detail17trampoline_kernelINS0_14default_configENS1_22reduce_config_selectorIfEEZNS1_11reduce_implILb1ES3_PfS7_fN6thrust23THRUST_200600_302600_NS4plusIfEEEE10hipError_tPvRmT1_T2_T3_mT4_P12ihipStream_tbEUlT_E0_NS1_11comp_targetILNS1_3genE3ELNS1_11target_archE908ELNS1_3gpuE7ELNS1_3repE0EEENS1_30default_config_static_selectorELNS0_4arch9wavefront6targetE0EEEvSF_.kd
    .uniform_work_group_size: 1
    .uses_dynamic_stack: false
    .vgpr_count:     0
    .vgpr_spill_count: 0
    .wavefront_size: 32
  - .args:
      - .offset:         0
        .size:           56
        .value_kind:     by_value
    .group_segment_fixed_size: 0
    .kernarg_segment_align: 8
    .kernarg_segment_size: 56
    .language:       OpenCL C
    .language_version:
      - 2
      - 0
    .max_flat_workgroup_size: 256
    .name:           _ZN7rocprim17ROCPRIM_400000_NS6detail17trampoline_kernelINS0_14default_configENS1_22reduce_config_selectorIfEEZNS1_11reduce_implILb1ES3_PfS7_fN6thrust23THRUST_200600_302600_NS4plusIfEEEE10hipError_tPvRmT1_T2_T3_mT4_P12ihipStream_tbEUlT_E0_NS1_11comp_targetILNS1_3genE2ELNS1_11target_archE906ELNS1_3gpuE6ELNS1_3repE0EEENS1_30default_config_static_selectorELNS0_4arch9wavefront6targetE0EEEvSF_
    .private_segment_fixed_size: 0
    .sgpr_count:     0
    .sgpr_spill_count: 0
    .symbol:         _ZN7rocprim17ROCPRIM_400000_NS6detail17trampoline_kernelINS0_14default_configENS1_22reduce_config_selectorIfEEZNS1_11reduce_implILb1ES3_PfS7_fN6thrust23THRUST_200600_302600_NS4plusIfEEEE10hipError_tPvRmT1_T2_T3_mT4_P12ihipStream_tbEUlT_E0_NS1_11comp_targetILNS1_3genE2ELNS1_11target_archE906ELNS1_3gpuE6ELNS1_3repE0EEENS1_30default_config_static_selectorELNS0_4arch9wavefront6targetE0EEEvSF_.kd
    .uniform_work_group_size: 1
    .uses_dynamic_stack: false
    .vgpr_count:     0
    .vgpr_spill_count: 0
    .wavefront_size: 32
  - .args:
      - .offset:         0
        .size:           56
        .value_kind:     by_value
    .group_segment_fixed_size: 0
    .kernarg_segment_align: 8
    .kernarg_segment_size: 56
    .language:       OpenCL C
    .language_version:
      - 2
      - 0
    .max_flat_workgroup_size: 256
    .name:           _ZN7rocprim17ROCPRIM_400000_NS6detail17trampoline_kernelINS0_14default_configENS1_22reduce_config_selectorIfEEZNS1_11reduce_implILb1ES3_PfS7_fN6thrust23THRUST_200600_302600_NS4plusIfEEEE10hipError_tPvRmT1_T2_T3_mT4_P12ihipStream_tbEUlT_E0_NS1_11comp_targetILNS1_3genE10ELNS1_11target_archE1201ELNS1_3gpuE5ELNS1_3repE0EEENS1_30default_config_static_selectorELNS0_4arch9wavefront6targetE0EEEvSF_
    .private_segment_fixed_size: 0
    .sgpr_count:     0
    .sgpr_spill_count: 0
    .symbol:         _ZN7rocprim17ROCPRIM_400000_NS6detail17trampoline_kernelINS0_14default_configENS1_22reduce_config_selectorIfEEZNS1_11reduce_implILb1ES3_PfS7_fN6thrust23THRUST_200600_302600_NS4plusIfEEEE10hipError_tPvRmT1_T2_T3_mT4_P12ihipStream_tbEUlT_E0_NS1_11comp_targetILNS1_3genE10ELNS1_11target_archE1201ELNS1_3gpuE5ELNS1_3repE0EEENS1_30default_config_static_selectorELNS0_4arch9wavefront6targetE0EEEvSF_.kd
    .uniform_work_group_size: 1
    .uses_dynamic_stack: false
    .vgpr_count:     0
    .vgpr_spill_count: 0
    .wavefront_size: 32
  - .args:
      - .offset:         0
        .size:           56
        .value_kind:     by_value
    .group_segment_fixed_size: 0
    .kernarg_segment_align: 8
    .kernarg_segment_size: 56
    .language:       OpenCL C
    .language_version:
      - 2
      - 0
    .max_flat_workgroup_size: 256
    .name:           _ZN7rocprim17ROCPRIM_400000_NS6detail17trampoline_kernelINS0_14default_configENS1_22reduce_config_selectorIfEEZNS1_11reduce_implILb1ES3_PfS7_fN6thrust23THRUST_200600_302600_NS4plusIfEEEE10hipError_tPvRmT1_T2_T3_mT4_P12ihipStream_tbEUlT_E0_NS1_11comp_targetILNS1_3genE10ELNS1_11target_archE1200ELNS1_3gpuE4ELNS1_3repE0EEENS1_30default_config_static_selectorELNS0_4arch9wavefront6targetE0EEEvSF_
    .private_segment_fixed_size: 0
    .sgpr_count:     0
    .sgpr_spill_count: 0
    .symbol:         _ZN7rocprim17ROCPRIM_400000_NS6detail17trampoline_kernelINS0_14default_configENS1_22reduce_config_selectorIfEEZNS1_11reduce_implILb1ES3_PfS7_fN6thrust23THRUST_200600_302600_NS4plusIfEEEE10hipError_tPvRmT1_T2_T3_mT4_P12ihipStream_tbEUlT_E0_NS1_11comp_targetILNS1_3genE10ELNS1_11target_archE1200ELNS1_3gpuE4ELNS1_3repE0EEENS1_30default_config_static_selectorELNS0_4arch9wavefront6targetE0EEEvSF_.kd
    .uniform_work_group_size: 1
    .uses_dynamic_stack: false
    .vgpr_count:     0
    .vgpr_spill_count: 0
    .wavefront_size: 32
  - .args:
      - .offset:         0
        .size:           56
        .value_kind:     by_value
    .group_segment_fixed_size: 0
    .kernarg_segment_align: 8
    .kernarg_segment_size: 56
    .language:       OpenCL C
    .language_version:
      - 2
      - 0
    .max_flat_workgroup_size: 256
    .name:           _ZN7rocprim17ROCPRIM_400000_NS6detail17trampoline_kernelINS0_14default_configENS1_22reduce_config_selectorIfEEZNS1_11reduce_implILb1ES3_PfS7_fN6thrust23THRUST_200600_302600_NS4plusIfEEEE10hipError_tPvRmT1_T2_T3_mT4_P12ihipStream_tbEUlT_E0_NS1_11comp_targetILNS1_3genE9ELNS1_11target_archE1100ELNS1_3gpuE3ELNS1_3repE0EEENS1_30default_config_static_selectorELNS0_4arch9wavefront6targetE0EEEvSF_
    .private_segment_fixed_size: 0
    .sgpr_count:     0
    .sgpr_spill_count: 0
    .symbol:         _ZN7rocprim17ROCPRIM_400000_NS6detail17trampoline_kernelINS0_14default_configENS1_22reduce_config_selectorIfEEZNS1_11reduce_implILb1ES3_PfS7_fN6thrust23THRUST_200600_302600_NS4plusIfEEEE10hipError_tPvRmT1_T2_T3_mT4_P12ihipStream_tbEUlT_E0_NS1_11comp_targetILNS1_3genE9ELNS1_11target_archE1100ELNS1_3gpuE3ELNS1_3repE0EEENS1_30default_config_static_selectorELNS0_4arch9wavefront6targetE0EEEvSF_.kd
    .uniform_work_group_size: 1
    .uses_dynamic_stack: false
    .vgpr_count:     0
    .vgpr_spill_count: 0
    .wavefront_size: 32
  - .args:
      - .offset:         0
        .size:           56
        .value_kind:     by_value
    .group_segment_fixed_size: 0
    .kernarg_segment_align: 8
    .kernarg_segment_size: 56
    .language:       OpenCL C
    .language_version:
      - 2
      - 0
    .max_flat_workgroup_size: 256
    .name:           _ZN7rocprim17ROCPRIM_400000_NS6detail17trampoline_kernelINS0_14default_configENS1_22reduce_config_selectorIfEEZNS1_11reduce_implILb1ES3_PfS7_fN6thrust23THRUST_200600_302600_NS4plusIfEEEE10hipError_tPvRmT1_T2_T3_mT4_P12ihipStream_tbEUlT_E0_NS1_11comp_targetILNS1_3genE8ELNS1_11target_archE1030ELNS1_3gpuE2ELNS1_3repE0EEENS1_30default_config_static_selectorELNS0_4arch9wavefront6targetE0EEEvSF_
    .private_segment_fixed_size: 0
    .sgpr_count:     0
    .sgpr_spill_count: 0
    .symbol:         _ZN7rocprim17ROCPRIM_400000_NS6detail17trampoline_kernelINS0_14default_configENS1_22reduce_config_selectorIfEEZNS1_11reduce_implILb1ES3_PfS7_fN6thrust23THRUST_200600_302600_NS4plusIfEEEE10hipError_tPvRmT1_T2_T3_mT4_P12ihipStream_tbEUlT_E0_NS1_11comp_targetILNS1_3genE8ELNS1_11target_archE1030ELNS1_3gpuE2ELNS1_3repE0EEENS1_30default_config_static_selectorELNS0_4arch9wavefront6targetE0EEEvSF_.kd
    .uniform_work_group_size: 1
    .uses_dynamic_stack: false
    .vgpr_count:     0
    .vgpr_spill_count: 0
    .wavefront_size: 32
  - .args:
      - .offset:         0
        .size:           40
        .value_kind:     by_value
    .group_segment_fixed_size: 224
    .kernarg_segment_align: 8
    .kernarg_segment_size: 40
    .language:       OpenCL C
    .language_version:
      - 2
      - 0
    .max_flat_workgroup_size: 256
    .name:           _ZN7rocprim17ROCPRIM_400000_NS6detail17trampoline_kernelINS0_14default_configENS1_22reduce_config_selectorIfEEZNS1_11reduce_implILb1ES3_PfS7_fN6thrust23THRUST_200600_302600_NS4plusIfEEEE10hipError_tPvRmT1_T2_T3_mT4_P12ihipStream_tbEUlT_E1_NS1_11comp_targetILNS1_3genE0ELNS1_11target_archE4294967295ELNS1_3gpuE0ELNS1_3repE0EEENS1_30default_config_static_selectorELNS0_4arch9wavefront6targetE0EEEvSF_
    .private_segment_fixed_size: 0
    .sgpr_count:     47
    .sgpr_spill_count: 0
    .symbol:         _ZN7rocprim17ROCPRIM_400000_NS6detail17trampoline_kernelINS0_14default_configENS1_22reduce_config_selectorIfEEZNS1_11reduce_implILb1ES3_PfS7_fN6thrust23THRUST_200600_302600_NS4plusIfEEEE10hipError_tPvRmT1_T2_T3_mT4_P12ihipStream_tbEUlT_E1_NS1_11comp_targetILNS1_3genE0ELNS1_11target_archE4294967295ELNS1_3gpuE0ELNS1_3repE0EEENS1_30default_config_static_selectorELNS0_4arch9wavefront6targetE0EEEvSF_.kd
    .uniform_work_group_size: 1
    .uses_dynamic_stack: false
    .vgpr_count:     36
    .vgpr_spill_count: 0
    .wavefront_size: 32
  - .args:
      - .offset:         0
        .size:           40
        .value_kind:     by_value
    .group_segment_fixed_size: 0
    .kernarg_segment_align: 8
    .kernarg_segment_size: 40
    .language:       OpenCL C
    .language_version:
      - 2
      - 0
    .max_flat_workgroup_size: 128
    .name:           _ZN7rocprim17ROCPRIM_400000_NS6detail17trampoline_kernelINS0_14default_configENS1_22reduce_config_selectorIfEEZNS1_11reduce_implILb1ES3_PfS7_fN6thrust23THRUST_200600_302600_NS4plusIfEEEE10hipError_tPvRmT1_T2_T3_mT4_P12ihipStream_tbEUlT_E1_NS1_11comp_targetILNS1_3genE5ELNS1_11target_archE942ELNS1_3gpuE9ELNS1_3repE0EEENS1_30default_config_static_selectorELNS0_4arch9wavefront6targetE0EEEvSF_
    .private_segment_fixed_size: 0
    .sgpr_count:     0
    .sgpr_spill_count: 0
    .symbol:         _ZN7rocprim17ROCPRIM_400000_NS6detail17trampoline_kernelINS0_14default_configENS1_22reduce_config_selectorIfEEZNS1_11reduce_implILb1ES3_PfS7_fN6thrust23THRUST_200600_302600_NS4plusIfEEEE10hipError_tPvRmT1_T2_T3_mT4_P12ihipStream_tbEUlT_E1_NS1_11comp_targetILNS1_3genE5ELNS1_11target_archE942ELNS1_3gpuE9ELNS1_3repE0EEENS1_30default_config_static_selectorELNS0_4arch9wavefront6targetE0EEEvSF_.kd
    .uniform_work_group_size: 1
    .uses_dynamic_stack: false
    .vgpr_count:     0
    .vgpr_spill_count: 0
    .wavefront_size: 32
  - .args:
      - .offset:         0
        .size:           40
        .value_kind:     by_value
    .group_segment_fixed_size: 0
    .kernarg_segment_align: 8
    .kernarg_segment_size: 40
    .language:       OpenCL C
    .language_version:
      - 2
      - 0
    .max_flat_workgroup_size: 128
    .name:           _ZN7rocprim17ROCPRIM_400000_NS6detail17trampoline_kernelINS0_14default_configENS1_22reduce_config_selectorIfEEZNS1_11reduce_implILb1ES3_PfS7_fN6thrust23THRUST_200600_302600_NS4plusIfEEEE10hipError_tPvRmT1_T2_T3_mT4_P12ihipStream_tbEUlT_E1_NS1_11comp_targetILNS1_3genE4ELNS1_11target_archE910ELNS1_3gpuE8ELNS1_3repE0EEENS1_30default_config_static_selectorELNS0_4arch9wavefront6targetE0EEEvSF_
    .private_segment_fixed_size: 0
    .sgpr_count:     0
    .sgpr_spill_count: 0
    .symbol:         _ZN7rocprim17ROCPRIM_400000_NS6detail17trampoline_kernelINS0_14default_configENS1_22reduce_config_selectorIfEEZNS1_11reduce_implILb1ES3_PfS7_fN6thrust23THRUST_200600_302600_NS4plusIfEEEE10hipError_tPvRmT1_T2_T3_mT4_P12ihipStream_tbEUlT_E1_NS1_11comp_targetILNS1_3genE4ELNS1_11target_archE910ELNS1_3gpuE8ELNS1_3repE0EEENS1_30default_config_static_selectorELNS0_4arch9wavefront6targetE0EEEvSF_.kd
    .uniform_work_group_size: 1
    .uses_dynamic_stack: false
    .vgpr_count:     0
    .vgpr_spill_count: 0
    .wavefront_size: 32
  - .args:
      - .offset:         0
        .size:           40
        .value_kind:     by_value
    .group_segment_fixed_size: 0
    .kernarg_segment_align: 8
    .kernarg_segment_size: 40
    .language:       OpenCL C
    .language_version:
      - 2
      - 0
    .max_flat_workgroup_size: 256
    .name:           _ZN7rocprim17ROCPRIM_400000_NS6detail17trampoline_kernelINS0_14default_configENS1_22reduce_config_selectorIfEEZNS1_11reduce_implILb1ES3_PfS7_fN6thrust23THRUST_200600_302600_NS4plusIfEEEE10hipError_tPvRmT1_T2_T3_mT4_P12ihipStream_tbEUlT_E1_NS1_11comp_targetILNS1_3genE3ELNS1_11target_archE908ELNS1_3gpuE7ELNS1_3repE0EEENS1_30default_config_static_selectorELNS0_4arch9wavefront6targetE0EEEvSF_
    .private_segment_fixed_size: 0
    .sgpr_count:     0
    .sgpr_spill_count: 0
    .symbol:         _ZN7rocprim17ROCPRIM_400000_NS6detail17trampoline_kernelINS0_14default_configENS1_22reduce_config_selectorIfEEZNS1_11reduce_implILb1ES3_PfS7_fN6thrust23THRUST_200600_302600_NS4plusIfEEEE10hipError_tPvRmT1_T2_T3_mT4_P12ihipStream_tbEUlT_E1_NS1_11comp_targetILNS1_3genE3ELNS1_11target_archE908ELNS1_3gpuE7ELNS1_3repE0EEENS1_30default_config_static_selectorELNS0_4arch9wavefront6targetE0EEEvSF_.kd
    .uniform_work_group_size: 1
    .uses_dynamic_stack: false
    .vgpr_count:     0
    .vgpr_spill_count: 0
    .wavefront_size: 32
  - .args:
      - .offset:         0
        .size:           40
        .value_kind:     by_value
    .group_segment_fixed_size: 0
    .kernarg_segment_align: 8
    .kernarg_segment_size: 40
    .language:       OpenCL C
    .language_version:
      - 2
      - 0
    .max_flat_workgroup_size: 256
    .name:           _ZN7rocprim17ROCPRIM_400000_NS6detail17trampoline_kernelINS0_14default_configENS1_22reduce_config_selectorIfEEZNS1_11reduce_implILb1ES3_PfS7_fN6thrust23THRUST_200600_302600_NS4plusIfEEEE10hipError_tPvRmT1_T2_T3_mT4_P12ihipStream_tbEUlT_E1_NS1_11comp_targetILNS1_3genE2ELNS1_11target_archE906ELNS1_3gpuE6ELNS1_3repE0EEENS1_30default_config_static_selectorELNS0_4arch9wavefront6targetE0EEEvSF_
    .private_segment_fixed_size: 0
    .sgpr_count:     0
    .sgpr_spill_count: 0
    .symbol:         _ZN7rocprim17ROCPRIM_400000_NS6detail17trampoline_kernelINS0_14default_configENS1_22reduce_config_selectorIfEEZNS1_11reduce_implILb1ES3_PfS7_fN6thrust23THRUST_200600_302600_NS4plusIfEEEE10hipError_tPvRmT1_T2_T3_mT4_P12ihipStream_tbEUlT_E1_NS1_11comp_targetILNS1_3genE2ELNS1_11target_archE906ELNS1_3gpuE6ELNS1_3repE0EEENS1_30default_config_static_selectorELNS0_4arch9wavefront6targetE0EEEvSF_.kd
    .uniform_work_group_size: 1
    .uses_dynamic_stack: false
    .vgpr_count:     0
    .vgpr_spill_count: 0
    .wavefront_size: 32
  - .args:
      - .offset:         0
        .size:           40
        .value_kind:     by_value
    .group_segment_fixed_size: 0
    .kernarg_segment_align: 8
    .kernarg_segment_size: 40
    .language:       OpenCL C
    .language_version:
      - 2
      - 0
    .max_flat_workgroup_size: 256
    .name:           _ZN7rocprim17ROCPRIM_400000_NS6detail17trampoline_kernelINS0_14default_configENS1_22reduce_config_selectorIfEEZNS1_11reduce_implILb1ES3_PfS7_fN6thrust23THRUST_200600_302600_NS4plusIfEEEE10hipError_tPvRmT1_T2_T3_mT4_P12ihipStream_tbEUlT_E1_NS1_11comp_targetILNS1_3genE10ELNS1_11target_archE1201ELNS1_3gpuE5ELNS1_3repE0EEENS1_30default_config_static_selectorELNS0_4arch9wavefront6targetE0EEEvSF_
    .private_segment_fixed_size: 0
    .sgpr_count:     0
    .sgpr_spill_count: 0
    .symbol:         _ZN7rocprim17ROCPRIM_400000_NS6detail17trampoline_kernelINS0_14default_configENS1_22reduce_config_selectorIfEEZNS1_11reduce_implILb1ES3_PfS7_fN6thrust23THRUST_200600_302600_NS4plusIfEEEE10hipError_tPvRmT1_T2_T3_mT4_P12ihipStream_tbEUlT_E1_NS1_11comp_targetILNS1_3genE10ELNS1_11target_archE1201ELNS1_3gpuE5ELNS1_3repE0EEENS1_30default_config_static_selectorELNS0_4arch9wavefront6targetE0EEEvSF_.kd
    .uniform_work_group_size: 1
    .uses_dynamic_stack: false
    .vgpr_count:     0
    .vgpr_spill_count: 0
    .wavefront_size: 32
  - .args:
      - .offset:         0
        .size:           40
        .value_kind:     by_value
    .group_segment_fixed_size: 0
    .kernarg_segment_align: 8
    .kernarg_segment_size: 40
    .language:       OpenCL C
    .language_version:
      - 2
      - 0
    .max_flat_workgroup_size: 256
    .name:           _ZN7rocprim17ROCPRIM_400000_NS6detail17trampoline_kernelINS0_14default_configENS1_22reduce_config_selectorIfEEZNS1_11reduce_implILb1ES3_PfS7_fN6thrust23THRUST_200600_302600_NS4plusIfEEEE10hipError_tPvRmT1_T2_T3_mT4_P12ihipStream_tbEUlT_E1_NS1_11comp_targetILNS1_3genE10ELNS1_11target_archE1200ELNS1_3gpuE4ELNS1_3repE0EEENS1_30default_config_static_selectorELNS0_4arch9wavefront6targetE0EEEvSF_
    .private_segment_fixed_size: 0
    .sgpr_count:     0
    .sgpr_spill_count: 0
    .symbol:         _ZN7rocprim17ROCPRIM_400000_NS6detail17trampoline_kernelINS0_14default_configENS1_22reduce_config_selectorIfEEZNS1_11reduce_implILb1ES3_PfS7_fN6thrust23THRUST_200600_302600_NS4plusIfEEEE10hipError_tPvRmT1_T2_T3_mT4_P12ihipStream_tbEUlT_E1_NS1_11comp_targetILNS1_3genE10ELNS1_11target_archE1200ELNS1_3gpuE4ELNS1_3repE0EEENS1_30default_config_static_selectorELNS0_4arch9wavefront6targetE0EEEvSF_.kd
    .uniform_work_group_size: 1
    .uses_dynamic_stack: false
    .vgpr_count:     0
    .vgpr_spill_count: 0
    .wavefront_size: 32
  - .args:
      - .offset:         0
        .size:           40
        .value_kind:     by_value
    .group_segment_fixed_size: 0
    .kernarg_segment_align: 8
    .kernarg_segment_size: 40
    .language:       OpenCL C
    .language_version:
      - 2
      - 0
    .max_flat_workgroup_size: 256
    .name:           _ZN7rocprim17ROCPRIM_400000_NS6detail17trampoline_kernelINS0_14default_configENS1_22reduce_config_selectorIfEEZNS1_11reduce_implILb1ES3_PfS7_fN6thrust23THRUST_200600_302600_NS4plusIfEEEE10hipError_tPvRmT1_T2_T3_mT4_P12ihipStream_tbEUlT_E1_NS1_11comp_targetILNS1_3genE9ELNS1_11target_archE1100ELNS1_3gpuE3ELNS1_3repE0EEENS1_30default_config_static_selectorELNS0_4arch9wavefront6targetE0EEEvSF_
    .private_segment_fixed_size: 0
    .sgpr_count:     0
    .sgpr_spill_count: 0
    .symbol:         _ZN7rocprim17ROCPRIM_400000_NS6detail17trampoline_kernelINS0_14default_configENS1_22reduce_config_selectorIfEEZNS1_11reduce_implILb1ES3_PfS7_fN6thrust23THRUST_200600_302600_NS4plusIfEEEE10hipError_tPvRmT1_T2_T3_mT4_P12ihipStream_tbEUlT_E1_NS1_11comp_targetILNS1_3genE9ELNS1_11target_archE1100ELNS1_3gpuE3ELNS1_3repE0EEENS1_30default_config_static_selectorELNS0_4arch9wavefront6targetE0EEEvSF_.kd
    .uniform_work_group_size: 1
    .uses_dynamic_stack: false
    .vgpr_count:     0
    .vgpr_spill_count: 0
    .wavefront_size: 32
  - .args:
      - .offset:         0
        .size:           40
        .value_kind:     by_value
    .group_segment_fixed_size: 0
    .kernarg_segment_align: 8
    .kernarg_segment_size: 40
    .language:       OpenCL C
    .language_version:
      - 2
      - 0
    .max_flat_workgroup_size: 256
    .name:           _ZN7rocprim17ROCPRIM_400000_NS6detail17trampoline_kernelINS0_14default_configENS1_22reduce_config_selectorIfEEZNS1_11reduce_implILb1ES3_PfS7_fN6thrust23THRUST_200600_302600_NS4plusIfEEEE10hipError_tPvRmT1_T2_T3_mT4_P12ihipStream_tbEUlT_E1_NS1_11comp_targetILNS1_3genE8ELNS1_11target_archE1030ELNS1_3gpuE2ELNS1_3repE0EEENS1_30default_config_static_selectorELNS0_4arch9wavefront6targetE0EEEvSF_
    .private_segment_fixed_size: 0
    .sgpr_count:     0
    .sgpr_spill_count: 0
    .symbol:         _ZN7rocprim17ROCPRIM_400000_NS6detail17trampoline_kernelINS0_14default_configENS1_22reduce_config_selectorIfEEZNS1_11reduce_implILb1ES3_PfS7_fN6thrust23THRUST_200600_302600_NS4plusIfEEEE10hipError_tPvRmT1_T2_T3_mT4_P12ihipStream_tbEUlT_E1_NS1_11comp_targetILNS1_3genE8ELNS1_11target_archE1030ELNS1_3gpuE2ELNS1_3repE0EEENS1_30default_config_static_selectorELNS0_4arch9wavefront6targetE0EEEvSF_.kd
    .uniform_work_group_size: 1
    .uses_dynamic_stack: false
    .vgpr_count:     0
    .vgpr_spill_count: 0
    .wavefront_size: 32
  - .args:
      - .offset:         0
        .size:           56
        .value_kind:     by_value
    .group_segment_fixed_size: 64
    .kernarg_segment_align: 8
    .kernarg_segment_size: 56
    .language:       OpenCL C
    .language_version:
      - 2
      - 0
    .max_flat_workgroup_size: 256
    .name:           _ZN7rocprim17ROCPRIM_400000_NS6detail17trampoline_kernelINS0_14default_configENS1_22reduce_config_selectorIfEEZNS1_11reduce_implILb1ES3_N6thrust23THRUST_200600_302600_NS11hip_rocprim26transform_input_iterator_tIfNS8_17counting_iteratorIiNS8_11use_defaultESC_SC_EE11estimate_piEEPffNS8_4plusIfEEEE10hipError_tPvRmT1_T2_T3_mT4_P12ihipStream_tbEUlT_E0_NS1_11comp_targetILNS1_3genE0ELNS1_11target_archE4294967295ELNS1_3gpuE0ELNS1_3repE0EEENS1_30default_config_static_selectorELNS0_4arch9wavefront6targetE0EEEvSM_
    .private_segment_fixed_size: 0
    .sgpr_count:     44
    .sgpr_spill_count: 0
    .symbol:         _ZN7rocprim17ROCPRIM_400000_NS6detail17trampoline_kernelINS0_14default_configENS1_22reduce_config_selectorIfEEZNS1_11reduce_implILb1ES3_N6thrust23THRUST_200600_302600_NS11hip_rocprim26transform_input_iterator_tIfNS8_17counting_iteratorIiNS8_11use_defaultESC_SC_EE11estimate_piEEPffNS8_4plusIfEEEE10hipError_tPvRmT1_T2_T3_mT4_P12ihipStream_tbEUlT_E0_NS1_11comp_targetILNS1_3genE0ELNS1_11target_archE4294967295ELNS1_3gpuE0ELNS1_3repE0EEENS1_30default_config_static_selectorELNS0_4arch9wavefront6targetE0EEEvSM_.kd
    .uniform_work_group_size: 1
    .uses_dynamic_stack: false
    .vgpr_count:     23
    .vgpr_spill_count: 0
    .wavefront_size: 32
  - .args:
      - .offset:         0
        .size:           56
        .value_kind:     by_value
    .group_segment_fixed_size: 0
    .kernarg_segment_align: 8
    .kernarg_segment_size: 56
    .language:       OpenCL C
    .language_version:
      - 2
      - 0
    .max_flat_workgroup_size: 128
    .name:           _ZN7rocprim17ROCPRIM_400000_NS6detail17trampoline_kernelINS0_14default_configENS1_22reduce_config_selectorIfEEZNS1_11reduce_implILb1ES3_N6thrust23THRUST_200600_302600_NS11hip_rocprim26transform_input_iterator_tIfNS8_17counting_iteratorIiNS8_11use_defaultESC_SC_EE11estimate_piEEPffNS8_4plusIfEEEE10hipError_tPvRmT1_T2_T3_mT4_P12ihipStream_tbEUlT_E0_NS1_11comp_targetILNS1_3genE5ELNS1_11target_archE942ELNS1_3gpuE9ELNS1_3repE0EEENS1_30default_config_static_selectorELNS0_4arch9wavefront6targetE0EEEvSM_
    .private_segment_fixed_size: 0
    .sgpr_count:     0
    .sgpr_spill_count: 0
    .symbol:         _ZN7rocprim17ROCPRIM_400000_NS6detail17trampoline_kernelINS0_14default_configENS1_22reduce_config_selectorIfEEZNS1_11reduce_implILb1ES3_N6thrust23THRUST_200600_302600_NS11hip_rocprim26transform_input_iterator_tIfNS8_17counting_iteratorIiNS8_11use_defaultESC_SC_EE11estimate_piEEPffNS8_4plusIfEEEE10hipError_tPvRmT1_T2_T3_mT4_P12ihipStream_tbEUlT_E0_NS1_11comp_targetILNS1_3genE5ELNS1_11target_archE942ELNS1_3gpuE9ELNS1_3repE0EEENS1_30default_config_static_selectorELNS0_4arch9wavefront6targetE0EEEvSM_.kd
    .uniform_work_group_size: 1
    .uses_dynamic_stack: false
    .vgpr_count:     0
    .vgpr_spill_count: 0
    .wavefront_size: 32
  - .args:
      - .offset:         0
        .size:           56
        .value_kind:     by_value
    .group_segment_fixed_size: 0
    .kernarg_segment_align: 8
    .kernarg_segment_size: 56
    .language:       OpenCL C
    .language_version:
      - 2
      - 0
    .max_flat_workgroup_size: 128
    .name:           _ZN7rocprim17ROCPRIM_400000_NS6detail17trampoline_kernelINS0_14default_configENS1_22reduce_config_selectorIfEEZNS1_11reduce_implILb1ES3_N6thrust23THRUST_200600_302600_NS11hip_rocprim26transform_input_iterator_tIfNS8_17counting_iteratorIiNS8_11use_defaultESC_SC_EE11estimate_piEEPffNS8_4plusIfEEEE10hipError_tPvRmT1_T2_T3_mT4_P12ihipStream_tbEUlT_E0_NS1_11comp_targetILNS1_3genE4ELNS1_11target_archE910ELNS1_3gpuE8ELNS1_3repE0EEENS1_30default_config_static_selectorELNS0_4arch9wavefront6targetE0EEEvSM_
    .private_segment_fixed_size: 0
    .sgpr_count:     0
    .sgpr_spill_count: 0
    .symbol:         _ZN7rocprim17ROCPRIM_400000_NS6detail17trampoline_kernelINS0_14default_configENS1_22reduce_config_selectorIfEEZNS1_11reduce_implILb1ES3_N6thrust23THRUST_200600_302600_NS11hip_rocprim26transform_input_iterator_tIfNS8_17counting_iteratorIiNS8_11use_defaultESC_SC_EE11estimate_piEEPffNS8_4plusIfEEEE10hipError_tPvRmT1_T2_T3_mT4_P12ihipStream_tbEUlT_E0_NS1_11comp_targetILNS1_3genE4ELNS1_11target_archE910ELNS1_3gpuE8ELNS1_3repE0EEENS1_30default_config_static_selectorELNS0_4arch9wavefront6targetE0EEEvSM_.kd
    .uniform_work_group_size: 1
    .uses_dynamic_stack: false
    .vgpr_count:     0
    .vgpr_spill_count: 0
    .wavefront_size: 32
  - .args:
      - .offset:         0
        .size:           56
        .value_kind:     by_value
    .group_segment_fixed_size: 0
    .kernarg_segment_align: 8
    .kernarg_segment_size: 56
    .language:       OpenCL C
    .language_version:
      - 2
      - 0
    .max_flat_workgroup_size: 256
    .name:           _ZN7rocprim17ROCPRIM_400000_NS6detail17trampoline_kernelINS0_14default_configENS1_22reduce_config_selectorIfEEZNS1_11reduce_implILb1ES3_N6thrust23THRUST_200600_302600_NS11hip_rocprim26transform_input_iterator_tIfNS8_17counting_iteratorIiNS8_11use_defaultESC_SC_EE11estimate_piEEPffNS8_4plusIfEEEE10hipError_tPvRmT1_T2_T3_mT4_P12ihipStream_tbEUlT_E0_NS1_11comp_targetILNS1_3genE3ELNS1_11target_archE908ELNS1_3gpuE7ELNS1_3repE0EEENS1_30default_config_static_selectorELNS0_4arch9wavefront6targetE0EEEvSM_
    .private_segment_fixed_size: 0
    .sgpr_count:     0
    .sgpr_spill_count: 0
    .symbol:         _ZN7rocprim17ROCPRIM_400000_NS6detail17trampoline_kernelINS0_14default_configENS1_22reduce_config_selectorIfEEZNS1_11reduce_implILb1ES3_N6thrust23THRUST_200600_302600_NS11hip_rocprim26transform_input_iterator_tIfNS8_17counting_iteratorIiNS8_11use_defaultESC_SC_EE11estimate_piEEPffNS8_4plusIfEEEE10hipError_tPvRmT1_T2_T3_mT4_P12ihipStream_tbEUlT_E0_NS1_11comp_targetILNS1_3genE3ELNS1_11target_archE908ELNS1_3gpuE7ELNS1_3repE0EEENS1_30default_config_static_selectorELNS0_4arch9wavefront6targetE0EEEvSM_.kd
    .uniform_work_group_size: 1
    .uses_dynamic_stack: false
    .vgpr_count:     0
    .vgpr_spill_count: 0
    .wavefront_size: 32
  - .args:
      - .offset:         0
        .size:           56
        .value_kind:     by_value
    .group_segment_fixed_size: 0
    .kernarg_segment_align: 8
    .kernarg_segment_size: 56
    .language:       OpenCL C
    .language_version:
      - 2
      - 0
    .max_flat_workgroup_size: 256
    .name:           _ZN7rocprim17ROCPRIM_400000_NS6detail17trampoline_kernelINS0_14default_configENS1_22reduce_config_selectorIfEEZNS1_11reduce_implILb1ES3_N6thrust23THRUST_200600_302600_NS11hip_rocprim26transform_input_iterator_tIfNS8_17counting_iteratorIiNS8_11use_defaultESC_SC_EE11estimate_piEEPffNS8_4plusIfEEEE10hipError_tPvRmT1_T2_T3_mT4_P12ihipStream_tbEUlT_E0_NS1_11comp_targetILNS1_3genE2ELNS1_11target_archE906ELNS1_3gpuE6ELNS1_3repE0EEENS1_30default_config_static_selectorELNS0_4arch9wavefront6targetE0EEEvSM_
    .private_segment_fixed_size: 0
    .sgpr_count:     0
    .sgpr_spill_count: 0
    .symbol:         _ZN7rocprim17ROCPRIM_400000_NS6detail17trampoline_kernelINS0_14default_configENS1_22reduce_config_selectorIfEEZNS1_11reduce_implILb1ES3_N6thrust23THRUST_200600_302600_NS11hip_rocprim26transform_input_iterator_tIfNS8_17counting_iteratorIiNS8_11use_defaultESC_SC_EE11estimate_piEEPffNS8_4plusIfEEEE10hipError_tPvRmT1_T2_T3_mT4_P12ihipStream_tbEUlT_E0_NS1_11comp_targetILNS1_3genE2ELNS1_11target_archE906ELNS1_3gpuE6ELNS1_3repE0EEENS1_30default_config_static_selectorELNS0_4arch9wavefront6targetE0EEEvSM_.kd
    .uniform_work_group_size: 1
    .uses_dynamic_stack: false
    .vgpr_count:     0
    .vgpr_spill_count: 0
    .wavefront_size: 32
  - .args:
      - .offset:         0
        .size:           56
        .value_kind:     by_value
    .group_segment_fixed_size: 0
    .kernarg_segment_align: 8
    .kernarg_segment_size: 56
    .language:       OpenCL C
    .language_version:
      - 2
      - 0
    .max_flat_workgroup_size: 256
    .name:           _ZN7rocprim17ROCPRIM_400000_NS6detail17trampoline_kernelINS0_14default_configENS1_22reduce_config_selectorIfEEZNS1_11reduce_implILb1ES3_N6thrust23THRUST_200600_302600_NS11hip_rocprim26transform_input_iterator_tIfNS8_17counting_iteratorIiNS8_11use_defaultESC_SC_EE11estimate_piEEPffNS8_4plusIfEEEE10hipError_tPvRmT1_T2_T3_mT4_P12ihipStream_tbEUlT_E0_NS1_11comp_targetILNS1_3genE10ELNS1_11target_archE1201ELNS1_3gpuE5ELNS1_3repE0EEENS1_30default_config_static_selectorELNS0_4arch9wavefront6targetE0EEEvSM_
    .private_segment_fixed_size: 0
    .sgpr_count:     0
    .sgpr_spill_count: 0
    .symbol:         _ZN7rocprim17ROCPRIM_400000_NS6detail17trampoline_kernelINS0_14default_configENS1_22reduce_config_selectorIfEEZNS1_11reduce_implILb1ES3_N6thrust23THRUST_200600_302600_NS11hip_rocprim26transform_input_iterator_tIfNS8_17counting_iteratorIiNS8_11use_defaultESC_SC_EE11estimate_piEEPffNS8_4plusIfEEEE10hipError_tPvRmT1_T2_T3_mT4_P12ihipStream_tbEUlT_E0_NS1_11comp_targetILNS1_3genE10ELNS1_11target_archE1201ELNS1_3gpuE5ELNS1_3repE0EEENS1_30default_config_static_selectorELNS0_4arch9wavefront6targetE0EEEvSM_.kd
    .uniform_work_group_size: 1
    .uses_dynamic_stack: false
    .vgpr_count:     0
    .vgpr_spill_count: 0
    .wavefront_size: 32
  - .args:
      - .offset:         0
        .size:           56
        .value_kind:     by_value
    .group_segment_fixed_size: 0
    .kernarg_segment_align: 8
    .kernarg_segment_size: 56
    .language:       OpenCL C
    .language_version:
      - 2
      - 0
    .max_flat_workgroup_size: 256
    .name:           _ZN7rocprim17ROCPRIM_400000_NS6detail17trampoline_kernelINS0_14default_configENS1_22reduce_config_selectorIfEEZNS1_11reduce_implILb1ES3_N6thrust23THRUST_200600_302600_NS11hip_rocprim26transform_input_iterator_tIfNS8_17counting_iteratorIiNS8_11use_defaultESC_SC_EE11estimate_piEEPffNS8_4plusIfEEEE10hipError_tPvRmT1_T2_T3_mT4_P12ihipStream_tbEUlT_E0_NS1_11comp_targetILNS1_3genE10ELNS1_11target_archE1200ELNS1_3gpuE4ELNS1_3repE0EEENS1_30default_config_static_selectorELNS0_4arch9wavefront6targetE0EEEvSM_
    .private_segment_fixed_size: 0
    .sgpr_count:     0
    .sgpr_spill_count: 0
    .symbol:         _ZN7rocprim17ROCPRIM_400000_NS6detail17trampoline_kernelINS0_14default_configENS1_22reduce_config_selectorIfEEZNS1_11reduce_implILb1ES3_N6thrust23THRUST_200600_302600_NS11hip_rocprim26transform_input_iterator_tIfNS8_17counting_iteratorIiNS8_11use_defaultESC_SC_EE11estimate_piEEPffNS8_4plusIfEEEE10hipError_tPvRmT1_T2_T3_mT4_P12ihipStream_tbEUlT_E0_NS1_11comp_targetILNS1_3genE10ELNS1_11target_archE1200ELNS1_3gpuE4ELNS1_3repE0EEENS1_30default_config_static_selectorELNS0_4arch9wavefront6targetE0EEEvSM_.kd
    .uniform_work_group_size: 1
    .uses_dynamic_stack: false
    .vgpr_count:     0
    .vgpr_spill_count: 0
    .wavefront_size: 32
  - .args:
      - .offset:         0
        .size:           56
        .value_kind:     by_value
    .group_segment_fixed_size: 0
    .kernarg_segment_align: 8
    .kernarg_segment_size: 56
    .language:       OpenCL C
    .language_version:
      - 2
      - 0
    .max_flat_workgroup_size: 256
    .name:           _ZN7rocprim17ROCPRIM_400000_NS6detail17trampoline_kernelINS0_14default_configENS1_22reduce_config_selectorIfEEZNS1_11reduce_implILb1ES3_N6thrust23THRUST_200600_302600_NS11hip_rocprim26transform_input_iterator_tIfNS8_17counting_iteratorIiNS8_11use_defaultESC_SC_EE11estimate_piEEPffNS8_4plusIfEEEE10hipError_tPvRmT1_T2_T3_mT4_P12ihipStream_tbEUlT_E0_NS1_11comp_targetILNS1_3genE9ELNS1_11target_archE1100ELNS1_3gpuE3ELNS1_3repE0EEENS1_30default_config_static_selectorELNS0_4arch9wavefront6targetE0EEEvSM_
    .private_segment_fixed_size: 0
    .sgpr_count:     0
    .sgpr_spill_count: 0
    .symbol:         _ZN7rocprim17ROCPRIM_400000_NS6detail17trampoline_kernelINS0_14default_configENS1_22reduce_config_selectorIfEEZNS1_11reduce_implILb1ES3_N6thrust23THRUST_200600_302600_NS11hip_rocprim26transform_input_iterator_tIfNS8_17counting_iteratorIiNS8_11use_defaultESC_SC_EE11estimate_piEEPffNS8_4plusIfEEEE10hipError_tPvRmT1_T2_T3_mT4_P12ihipStream_tbEUlT_E0_NS1_11comp_targetILNS1_3genE9ELNS1_11target_archE1100ELNS1_3gpuE3ELNS1_3repE0EEENS1_30default_config_static_selectorELNS0_4arch9wavefront6targetE0EEEvSM_.kd
    .uniform_work_group_size: 1
    .uses_dynamic_stack: false
    .vgpr_count:     0
    .vgpr_spill_count: 0
    .wavefront_size: 32
  - .args:
      - .offset:         0
        .size:           56
        .value_kind:     by_value
    .group_segment_fixed_size: 0
    .kernarg_segment_align: 8
    .kernarg_segment_size: 56
    .language:       OpenCL C
    .language_version:
      - 2
      - 0
    .max_flat_workgroup_size: 256
    .name:           _ZN7rocprim17ROCPRIM_400000_NS6detail17trampoline_kernelINS0_14default_configENS1_22reduce_config_selectorIfEEZNS1_11reduce_implILb1ES3_N6thrust23THRUST_200600_302600_NS11hip_rocprim26transform_input_iterator_tIfNS8_17counting_iteratorIiNS8_11use_defaultESC_SC_EE11estimate_piEEPffNS8_4plusIfEEEE10hipError_tPvRmT1_T2_T3_mT4_P12ihipStream_tbEUlT_E0_NS1_11comp_targetILNS1_3genE8ELNS1_11target_archE1030ELNS1_3gpuE2ELNS1_3repE0EEENS1_30default_config_static_selectorELNS0_4arch9wavefront6targetE0EEEvSM_
    .private_segment_fixed_size: 0
    .sgpr_count:     0
    .sgpr_spill_count: 0
    .symbol:         _ZN7rocprim17ROCPRIM_400000_NS6detail17trampoline_kernelINS0_14default_configENS1_22reduce_config_selectorIfEEZNS1_11reduce_implILb1ES3_N6thrust23THRUST_200600_302600_NS11hip_rocprim26transform_input_iterator_tIfNS8_17counting_iteratorIiNS8_11use_defaultESC_SC_EE11estimate_piEEPffNS8_4plusIfEEEE10hipError_tPvRmT1_T2_T3_mT4_P12ihipStream_tbEUlT_E0_NS1_11comp_targetILNS1_3genE8ELNS1_11target_archE1030ELNS1_3gpuE2ELNS1_3repE0EEENS1_30default_config_static_selectorELNS0_4arch9wavefront6targetE0EEEvSM_.kd
    .uniform_work_group_size: 1
    .uses_dynamic_stack: false
    .vgpr_count:     0
    .vgpr_spill_count: 0
    .wavefront_size: 32
  - .args:
      - .offset:         0
        .size:           40
        .value_kind:     by_value
      - .offset:         40
        .size:           4
        .value_kind:     hidden_block_count_x
      - .offset:         44
        .size:           4
        .value_kind:     hidden_block_count_y
      - .offset:         48
        .size:           4
        .value_kind:     hidden_block_count_z
      - .offset:         52
        .size:           2
        .value_kind:     hidden_group_size_x
      - .offset:         54
        .size:           2
        .value_kind:     hidden_group_size_y
      - .offset:         56
        .size:           2
        .value_kind:     hidden_group_size_z
      - .offset:         58
        .size:           2
        .value_kind:     hidden_remainder_x
      - .offset:         60
        .size:           2
        .value_kind:     hidden_remainder_y
      - .offset:         62
        .size:           2
        .value_kind:     hidden_remainder_z
      - .offset:         80
        .size:           8
        .value_kind:     hidden_global_offset_x
      - .offset:         88
        .size:           8
        .value_kind:     hidden_global_offset_y
      - .offset:         96
        .size:           8
        .value_kind:     hidden_global_offset_z
      - .offset:         104
        .size:           2
        .value_kind:     hidden_grid_dims
    .group_segment_fixed_size: 224
    .kernarg_segment_align: 8
    .kernarg_segment_size: 296
    .language:       OpenCL C
    .language_version:
      - 2
      - 0
    .max_flat_workgroup_size: 256
    .name:           _ZN7rocprim17ROCPRIM_400000_NS6detail17trampoline_kernelINS0_14default_configENS1_22reduce_config_selectorIfEEZNS1_11reduce_implILb1ES3_N6thrust23THRUST_200600_302600_NS11hip_rocprim26transform_input_iterator_tIfNS8_17counting_iteratorIiNS8_11use_defaultESC_SC_EE11estimate_piEEPffNS8_4plusIfEEEE10hipError_tPvRmT1_T2_T3_mT4_P12ihipStream_tbEUlT_E1_NS1_11comp_targetILNS1_3genE0ELNS1_11target_archE4294967295ELNS1_3gpuE0ELNS1_3repE0EEENS1_30default_config_static_selectorELNS0_4arch9wavefront6targetE0EEEvSM_
    .private_segment_fixed_size: 96
    .sgpr_count:     94
    .sgpr_spill_count: 0
    .symbol:         _ZN7rocprim17ROCPRIM_400000_NS6detail17trampoline_kernelINS0_14default_configENS1_22reduce_config_selectorIfEEZNS1_11reduce_implILb1ES3_N6thrust23THRUST_200600_302600_NS11hip_rocprim26transform_input_iterator_tIfNS8_17counting_iteratorIiNS8_11use_defaultESC_SC_EE11estimate_piEEPffNS8_4plusIfEEEE10hipError_tPvRmT1_T2_T3_mT4_P12ihipStream_tbEUlT_E1_NS1_11comp_targetILNS1_3genE0ELNS1_11target_archE4294967295ELNS1_3gpuE0ELNS1_3repE0EEENS1_30default_config_static_selectorELNS0_4arch9wavefront6targetE0EEEvSM_.kd
    .uniform_work_group_size: 1
    .uses_dynamic_stack: false
    .vgpr_count:     71
    .vgpr_spill_count: 0
    .wavefront_size: 32
  - .args:
      - .offset:         0
        .size:           40
        .value_kind:     by_value
    .group_segment_fixed_size: 0
    .kernarg_segment_align: 8
    .kernarg_segment_size: 40
    .language:       OpenCL C
    .language_version:
      - 2
      - 0
    .max_flat_workgroup_size: 128
    .name:           _ZN7rocprim17ROCPRIM_400000_NS6detail17trampoline_kernelINS0_14default_configENS1_22reduce_config_selectorIfEEZNS1_11reduce_implILb1ES3_N6thrust23THRUST_200600_302600_NS11hip_rocprim26transform_input_iterator_tIfNS8_17counting_iteratorIiNS8_11use_defaultESC_SC_EE11estimate_piEEPffNS8_4plusIfEEEE10hipError_tPvRmT1_T2_T3_mT4_P12ihipStream_tbEUlT_E1_NS1_11comp_targetILNS1_3genE5ELNS1_11target_archE942ELNS1_3gpuE9ELNS1_3repE0EEENS1_30default_config_static_selectorELNS0_4arch9wavefront6targetE0EEEvSM_
    .private_segment_fixed_size: 0
    .sgpr_count:     0
    .sgpr_spill_count: 0
    .symbol:         _ZN7rocprim17ROCPRIM_400000_NS6detail17trampoline_kernelINS0_14default_configENS1_22reduce_config_selectorIfEEZNS1_11reduce_implILb1ES3_N6thrust23THRUST_200600_302600_NS11hip_rocprim26transform_input_iterator_tIfNS8_17counting_iteratorIiNS8_11use_defaultESC_SC_EE11estimate_piEEPffNS8_4plusIfEEEE10hipError_tPvRmT1_T2_T3_mT4_P12ihipStream_tbEUlT_E1_NS1_11comp_targetILNS1_3genE5ELNS1_11target_archE942ELNS1_3gpuE9ELNS1_3repE0EEENS1_30default_config_static_selectorELNS0_4arch9wavefront6targetE0EEEvSM_.kd
    .uniform_work_group_size: 1
    .uses_dynamic_stack: false
    .vgpr_count:     0
    .vgpr_spill_count: 0
    .wavefront_size: 32
  - .args:
      - .offset:         0
        .size:           40
        .value_kind:     by_value
    .group_segment_fixed_size: 0
    .kernarg_segment_align: 8
    .kernarg_segment_size: 40
    .language:       OpenCL C
    .language_version:
      - 2
      - 0
    .max_flat_workgroup_size: 128
    .name:           _ZN7rocprim17ROCPRIM_400000_NS6detail17trampoline_kernelINS0_14default_configENS1_22reduce_config_selectorIfEEZNS1_11reduce_implILb1ES3_N6thrust23THRUST_200600_302600_NS11hip_rocprim26transform_input_iterator_tIfNS8_17counting_iteratorIiNS8_11use_defaultESC_SC_EE11estimate_piEEPffNS8_4plusIfEEEE10hipError_tPvRmT1_T2_T3_mT4_P12ihipStream_tbEUlT_E1_NS1_11comp_targetILNS1_3genE4ELNS1_11target_archE910ELNS1_3gpuE8ELNS1_3repE0EEENS1_30default_config_static_selectorELNS0_4arch9wavefront6targetE0EEEvSM_
    .private_segment_fixed_size: 0
    .sgpr_count:     0
    .sgpr_spill_count: 0
    .symbol:         _ZN7rocprim17ROCPRIM_400000_NS6detail17trampoline_kernelINS0_14default_configENS1_22reduce_config_selectorIfEEZNS1_11reduce_implILb1ES3_N6thrust23THRUST_200600_302600_NS11hip_rocprim26transform_input_iterator_tIfNS8_17counting_iteratorIiNS8_11use_defaultESC_SC_EE11estimate_piEEPffNS8_4plusIfEEEE10hipError_tPvRmT1_T2_T3_mT4_P12ihipStream_tbEUlT_E1_NS1_11comp_targetILNS1_3genE4ELNS1_11target_archE910ELNS1_3gpuE8ELNS1_3repE0EEENS1_30default_config_static_selectorELNS0_4arch9wavefront6targetE0EEEvSM_.kd
    .uniform_work_group_size: 1
    .uses_dynamic_stack: false
    .vgpr_count:     0
    .vgpr_spill_count: 0
    .wavefront_size: 32
  - .args:
      - .offset:         0
        .size:           40
        .value_kind:     by_value
    .group_segment_fixed_size: 0
    .kernarg_segment_align: 8
    .kernarg_segment_size: 40
    .language:       OpenCL C
    .language_version:
      - 2
      - 0
    .max_flat_workgroup_size: 256
    .name:           _ZN7rocprim17ROCPRIM_400000_NS6detail17trampoline_kernelINS0_14default_configENS1_22reduce_config_selectorIfEEZNS1_11reduce_implILb1ES3_N6thrust23THRUST_200600_302600_NS11hip_rocprim26transform_input_iterator_tIfNS8_17counting_iteratorIiNS8_11use_defaultESC_SC_EE11estimate_piEEPffNS8_4plusIfEEEE10hipError_tPvRmT1_T2_T3_mT4_P12ihipStream_tbEUlT_E1_NS1_11comp_targetILNS1_3genE3ELNS1_11target_archE908ELNS1_3gpuE7ELNS1_3repE0EEENS1_30default_config_static_selectorELNS0_4arch9wavefront6targetE0EEEvSM_
    .private_segment_fixed_size: 0
    .sgpr_count:     0
    .sgpr_spill_count: 0
    .symbol:         _ZN7rocprim17ROCPRIM_400000_NS6detail17trampoline_kernelINS0_14default_configENS1_22reduce_config_selectorIfEEZNS1_11reduce_implILb1ES3_N6thrust23THRUST_200600_302600_NS11hip_rocprim26transform_input_iterator_tIfNS8_17counting_iteratorIiNS8_11use_defaultESC_SC_EE11estimate_piEEPffNS8_4plusIfEEEE10hipError_tPvRmT1_T2_T3_mT4_P12ihipStream_tbEUlT_E1_NS1_11comp_targetILNS1_3genE3ELNS1_11target_archE908ELNS1_3gpuE7ELNS1_3repE0EEENS1_30default_config_static_selectorELNS0_4arch9wavefront6targetE0EEEvSM_.kd
    .uniform_work_group_size: 1
    .uses_dynamic_stack: false
    .vgpr_count:     0
    .vgpr_spill_count: 0
    .wavefront_size: 32
  - .args:
      - .offset:         0
        .size:           40
        .value_kind:     by_value
    .group_segment_fixed_size: 0
    .kernarg_segment_align: 8
    .kernarg_segment_size: 40
    .language:       OpenCL C
    .language_version:
      - 2
      - 0
    .max_flat_workgroup_size: 256
    .name:           _ZN7rocprim17ROCPRIM_400000_NS6detail17trampoline_kernelINS0_14default_configENS1_22reduce_config_selectorIfEEZNS1_11reduce_implILb1ES3_N6thrust23THRUST_200600_302600_NS11hip_rocprim26transform_input_iterator_tIfNS8_17counting_iteratorIiNS8_11use_defaultESC_SC_EE11estimate_piEEPffNS8_4plusIfEEEE10hipError_tPvRmT1_T2_T3_mT4_P12ihipStream_tbEUlT_E1_NS1_11comp_targetILNS1_3genE2ELNS1_11target_archE906ELNS1_3gpuE6ELNS1_3repE0EEENS1_30default_config_static_selectorELNS0_4arch9wavefront6targetE0EEEvSM_
    .private_segment_fixed_size: 0
    .sgpr_count:     0
    .sgpr_spill_count: 0
    .symbol:         _ZN7rocprim17ROCPRIM_400000_NS6detail17trampoline_kernelINS0_14default_configENS1_22reduce_config_selectorIfEEZNS1_11reduce_implILb1ES3_N6thrust23THRUST_200600_302600_NS11hip_rocprim26transform_input_iterator_tIfNS8_17counting_iteratorIiNS8_11use_defaultESC_SC_EE11estimate_piEEPffNS8_4plusIfEEEE10hipError_tPvRmT1_T2_T3_mT4_P12ihipStream_tbEUlT_E1_NS1_11comp_targetILNS1_3genE2ELNS1_11target_archE906ELNS1_3gpuE6ELNS1_3repE0EEENS1_30default_config_static_selectorELNS0_4arch9wavefront6targetE0EEEvSM_.kd
    .uniform_work_group_size: 1
    .uses_dynamic_stack: false
    .vgpr_count:     0
    .vgpr_spill_count: 0
    .wavefront_size: 32
  - .args:
      - .offset:         0
        .size:           40
        .value_kind:     by_value
    .group_segment_fixed_size: 0
    .kernarg_segment_align: 8
    .kernarg_segment_size: 40
    .language:       OpenCL C
    .language_version:
      - 2
      - 0
    .max_flat_workgroup_size: 256
    .name:           _ZN7rocprim17ROCPRIM_400000_NS6detail17trampoline_kernelINS0_14default_configENS1_22reduce_config_selectorIfEEZNS1_11reduce_implILb1ES3_N6thrust23THRUST_200600_302600_NS11hip_rocprim26transform_input_iterator_tIfNS8_17counting_iteratorIiNS8_11use_defaultESC_SC_EE11estimate_piEEPffNS8_4plusIfEEEE10hipError_tPvRmT1_T2_T3_mT4_P12ihipStream_tbEUlT_E1_NS1_11comp_targetILNS1_3genE10ELNS1_11target_archE1201ELNS1_3gpuE5ELNS1_3repE0EEENS1_30default_config_static_selectorELNS0_4arch9wavefront6targetE0EEEvSM_
    .private_segment_fixed_size: 0
    .sgpr_count:     0
    .sgpr_spill_count: 0
    .symbol:         _ZN7rocprim17ROCPRIM_400000_NS6detail17trampoline_kernelINS0_14default_configENS1_22reduce_config_selectorIfEEZNS1_11reduce_implILb1ES3_N6thrust23THRUST_200600_302600_NS11hip_rocprim26transform_input_iterator_tIfNS8_17counting_iteratorIiNS8_11use_defaultESC_SC_EE11estimate_piEEPffNS8_4plusIfEEEE10hipError_tPvRmT1_T2_T3_mT4_P12ihipStream_tbEUlT_E1_NS1_11comp_targetILNS1_3genE10ELNS1_11target_archE1201ELNS1_3gpuE5ELNS1_3repE0EEENS1_30default_config_static_selectorELNS0_4arch9wavefront6targetE0EEEvSM_.kd
    .uniform_work_group_size: 1
    .uses_dynamic_stack: false
    .vgpr_count:     0
    .vgpr_spill_count: 0
    .wavefront_size: 32
  - .args:
      - .offset:         0
        .size:           40
        .value_kind:     by_value
    .group_segment_fixed_size: 0
    .kernarg_segment_align: 8
    .kernarg_segment_size: 40
    .language:       OpenCL C
    .language_version:
      - 2
      - 0
    .max_flat_workgroup_size: 256
    .name:           _ZN7rocprim17ROCPRIM_400000_NS6detail17trampoline_kernelINS0_14default_configENS1_22reduce_config_selectorIfEEZNS1_11reduce_implILb1ES3_N6thrust23THRUST_200600_302600_NS11hip_rocprim26transform_input_iterator_tIfNS8_17counting_iteratorIiNS8_11use_defaultESC_SC_EE11estimate_piEEPffNS8_4plusIfEEEE10hipError_tPvRmT1_T2_T3_mT4_P12ihipStream_tbEUlT_E1_NS1_11comp_targetILNS1_3genE10ELNS1_11target_archE1200ELNS1_3gpuE4ELNS1_3repE0EEENS1_30default_config_static_selectorELNS0_4arch9wavefront6targetE0EEEvSM_
    .private_segment_fixed_size: 0
    .sgpr_count:     0
    .sgpr_spill_count: 0
    .symbol:         _ZN7rocprim17ROCPRIM_400000_NS6detail17trampoline_kernelINS0_14default_configENS1_22reduce_config_selectorIfEEZNS1_11reduce_implILb1ES3_N6thrust23THRUST_200600_302600_NS11hip_rocprim26transform_input_iterator_tIfNS8_17counting_iteratorIiNS8_11use_defaultESC_SC_EE11estimate_piEEPffNS8_4plusIfEEEE10hipError_tPvRmT1_T2_T3_mT4_P12ihipStream_tbEUlT_E1_NS1_11comp_targetILNS1_3genE10ELNS1_11target_archE1200ELNS1_3gpuE4ELNS1_3repE0EEENS1_30default_config_static_selectorELNS0_4arch9wavefront6targetE0EEEvSM_.kd
    .uniform_work_group_size: 1
    .uses_dynamic_stack: false
    .vgpr_count:     0
    .vgpr_spill_count: 0
    .wavefront_size: 32
  - .args:
      - .offset:         0
        .size:           40
        .value_kind:     by_value
    .group_segment_fixed_size: 0
    .kernarg_segment_align: 8
    .kernarg_segment_size: 40
    .language:       OpenCL C
    .language_version:
      - 2
      - 0
    .max_flat_workgroup_size: 256
    .name:           _ZN7rocprim17ROCPRIM_400000_NS6detail17trampoline_kernelINS0_14default_configENS1_22reduce_config_selectorIfEEZNS1_11reduce_implILb1ES3_N6thrust23THRUST_200600_302600_NS11hip_rocprim26transform_input_iterator_tIfNS8_17counting_iteratorIiNS8_11use_defaultESC_SC_EE11estimate_piEEPffNS8_4plusIfEEEE10hipError_tPvRmT1_T2_T3_mT4_P12ihipStream_tbEUlT_E1_NS1_11comp_targetILNS1_3genE9ELNS1_11target_archE1100ELNS1_3gpuE3ELNS1_3repE0EEENS1_30default_config_static_selectorELNS0_4arch9wavefront6targetE0EEEvSM_
    .private_segment_fixed_size: 0
    .sgpr_count:     0
    .sgpr_spill_count: 0
    .symbol:         _ZN7rocprim17ROCPRIM_400000_NS6detail17trampoline_kernelINS0_14default_configENS1_22reduce_config_selectorIfEEZNS1_11reduce_implILb1ES3_N6thrust23THRUST_200600_302600_NS11hip_rocprim26transform_input_iterator_tIfNS8_17counting_iteratorIiNS8_11use_defaultESC_SC_EE11estimate_piEEPffNS8_4plusIfEEEE10hipError_tPvRmT1_T2_T3_mT4_P12ihipStream_tbEUlT_E1_NS1_11comp_targetILNS1_3genE9ELNS1_11target_archE1100ELNS1_3gpuE3ELNS1_3repE0EEENS1_30default_config_static_selectorELNS0_4arch9wavefront6targetE0EEEvSM_.kd
    .uniform_work_group_size: 1
    .uses_dynamic_stack: false
    .vgpr_count:     0
    .vgpr_spill_count: 0
    .wavefront_size: 32
  - .args:
      - .offset:         0
        .size:           40
        .value_kind:     by_value
    .group_segment_fixed_size: 0
    .kernarg_segment_align: 8
    .kernarg_segment_size: 40
    .language:       OpenCL C
    .language_version:
      - 2
      - 0
    .max_flat_workgroup_size: 256
    .name:           _ZN7rocprim17ROCPRIM_400000_NS6detail17trampoline_kernelINS0_14default_configENS1_22reduce_config_selectorIfEEZNS1_11reduce_implILb1ES3_N6thrust23THRUST_200600_302600_NS11hip_rocprim26transform_input_iterator_tIfNS8_17counting_iteratorIiNS8_11use_defaultESC_SC_EE11estimate_piEEPffNS8_4plusIfEEEE10hipError_tPvRmT1_T2_T3_mT4_P12ihipStream_tbEUlT_E1_NS1_11comp_targetILNS1_3genE8ELNS1_11target_archE1030ELNS1_3gpuE2ELNS1_3repE0EEENS1_30default_config_static_selectorELNS0_4arch9wavefront6targetE0EEEvSM_
    .private_segment_fixed_size: 0
    .sgpr_count:     0
    .sgpr_spill_count: 0
    .symbol:         _ZN7rocprim17ROCPRIM_400000_NS6detail17trampoline_kernelINS0_14default_configENS1_22reduce_config_selectorIfEEZNS1_11reduce_implILb1ES3_N6thrust23THRUST_200600_302600_NS11hip_rocprim26transform_input_iterator_tIfNS8_17counting_iteratorIiNS8_11use_defaultESC_SC_EE11estimate_piEEPffNS8_4plusIfEEEE10hipError_tPvRmT1_T2_T3_mT4_P12ihipStream_tbEUlT_E1_NS1_11comp_targetILNS1_3genE8ELNS1_11target_archE1030ELNS1_3gpuE2ELNS1_3repE0EEENS1_30default_config_static_selectorELNS0_4arch9wavefront6targetE0EEEvSM_.kd
    .uniform_work_group_size: 1
    .uses_dynamic_stack: false
    .vgpr_count:     0
    .vgpr_spill_count: 0
    .wavefront_size: 32
amdhsa.target:   amdgcn-amd-amdhsa--gfx1250
amdhsa.version:
  - 1
  - 2
...

	.end_amdgpu_metadata
